;; amdgpu-corpus repo=ROCm/rocFFT kind=compiled arch=gfx906 opt=O3
	.text
	.amdgcn_target "amdgcn-amd-amdhsa--gfx906"
	.amdhsa_code_object_version 6
	.protected	fft_rtc_fwd_len3645_factors_5_3_3_3_3_3_3_wgs_243_tpt_243_halfLds_half_ip_CI_unitstride_sbrr_dirReg ; -- Begin function fft_rtc_fwd_len3645_factors_5_3_3_3_3_3_3_wgs_243_tpt_243_halfLds_half_ip_CI_unitstride_sbrr_dirReg
	.globl	fft_rtc_fwd_len3645_factors_5_3_3_3_3_3_3_wgs_243_tpt_243_halfLds_half_ip_CI_unitstride_sbrr_dirReg
	.p2align	8
	.type	fft_rtc_fwd_len3645_factors_5_3_3_3_3_3_3_wgs_243_tpt_243_halfLds_half_ip_CI_unitstride_sbrr_dirReg,@function
fft_rtc_fwd_len3645_factors_5_3_3_3_3_3_3_wgs_243_tpt_243_halfLds_half_ip_CI_unitstride_sbrr_dirReg: ; @fft_rtc_fwd_len3645_factors_5_3_3_3_3_3_3_wgs_243_tpt_243_halfLds_half_ip_CI_unitstride_sbrr_dirReg
; %bb.0:
	s_load_dwordx2 s[2:3], s[4:5], 0x50
	s_load_dwordx4 s[8:11], s[4:5], 0x0
	s_load_dwordx2 s[12:13], s[4:5], 0x18
	v_mul_u32_u24_e32 v1, 0x10e, v0
	v_add_u32_sdwa v5, s6, v1 dst_sel:DWORD dst_unused:UNUSED_PAD src0_sel:DWORD src1_sel:WORD_1
	v_mov_b32_e32 v3, 0
	s_waitcnt lgkmcnt(0)
	v_cmp_lt_u64_e64 s[0:1], s[10:11], 2
	v_mov_b32_e32 v1, 0
	v_mov_b32_e32 v6, v3
	s_and_b64 vcc, exec, s[0:1]
	v_mov_b32_e32 v2, 0
	s_cbranch_vccnz .LBB0_8
; %bb.1:
	s_load_dwordx2 s[0:1], s[4:5], 0x10
	s_add_u32 s6, s12, 8
	s_addc_u32 s7, s13, 0
	v_mov_b32_e32 v1, 0
	v_mov_b32_e32 v2, 0
	s_waitcnt lgkmcnt(0)
	s_add_u32 s14, s0, 8
	s_addc_u32 s15, s1, 0
	s_mov_b64 s[16:17], 1
.LBB0_2:                                ; =>This Inner Loop Header: Depth=1
	s_load_dwordx2 s[18:19], s[14:15], 0x0
                                        ; implicit-def: $vgpr7_vgpr8
	s_waitcnt lgkmcnt(0)
	v_or_b32_e32 v4, s19, v6
	v_cmp_ne_u64_e32 vcc, 0, v[3:4]
	s_and_saveexec_b64 s[0:1], vcc
	s_xor_b64 s[20:21], exec, s[0:1]
	s_cbranch_execz .LBB0_4
; %bb.3:                                ;   in Loop: Header=BB0_2 Depth=1
	v_cvt_f32_u32_e32 v4, s18
	v_cvt_f32_u32_e32 v7, s19
	s_sub_u32 s0, 0, s18
	s_subb_u32 s1, 0, s19
	v_mac_f32_e32 v4, 0x4f800000, v7
	v_rcp_f32_e32 v4, v4
	v_mul_f32_e32 v4, 0x5f7ffffc, v4
	v_mul_f32_e32 v7, 0x2f800000, v4
	v_trunc_f32_e32 v7, v7
	v_mac_f32_e32 v4, 0xcf800000, v7
	v_cvt_u32_f32_e32 v7, v7
	v_cvt_u32_f32_e32 v4, v4
	v_mul_lo_u32 v8, s0, v7
	v_mul_hi_u32 v9, s0, v4
	v_mul_lo_u32 v11, s1, v4
	v_mul_lo_u32 v10, s0, v4
	v_add_u32_e32 v8, v9, v8
	v_add_u32_e32 v8, v8, v11
	v_mul_hi_u32 v9, v4, v10
	v_mul_lo_u32 v11, v4, v8
	v_mul_hi_u32 v13, v4, v8
	v_mul_hi_u32 v12, v7, v10
	v_mul_lo_u32 v10, v7, v10
	v_mul_hi_u32 v14, v7, v8
	v_add_co_u32_e32 v9, vcc, v9, v11
	v_addc_co_u32_e32 v11, vcc, 0, v13, vcc
	v_mul_lo_u32 v8, v7, v8
	v_add_co_u32_e32 v9, vcc, v9, v10
	v_addc_co_u32_e32 v9, vcc, v11, v12, vcc
	v_addc_co_u32_e32 v10, vcc, 0, v14, vcc
	v_add_co_u32_e32 v8, vcc, v9, v8
	v_addc_co_u32_e32 v9, vcc, 0, v10, vcc
	v_add_co_u32_e32 v4, vcc, v4, v8
	v_addc_co_u32_e32 v7, vcc, v7, v9, vcc
	v_mul_lo_u32 v8, s0, v7
	v_mul_hi_u32 v9, s0, v4
	v_mul_lo_u32 v10, s1, v4
	v_mul_lo_u32 v11, s0, v4
	v_add_u32_e32 v8, v9, v8
	v_add_u32_e32 v8, v8, v10
	v_mul_lo_u32 v12, v4, v8
	v_mul_hi_u32 v13, v4, v11
	v_mul_hi_u32 v14, v4, v8
	;; [unrolled: 1-line block ×3, first 2 shown]
	v_mul_lo_u32 v11, v7, v11
	v_mul_hi_u32 v9, v7, v8
	v_add_co_u32_e32 v12, vcc, v13, v12
	v_addc_co_u32_e32 v13, vcc, 0, v14, vcc
	v_mul_lo_u32 v8, v7, v8
	v_add_co_u32_e32 v11, vcc, v12, v11
	v_addc_co_u32_e32 v10, vcc, v13, v10, vcc
	v_addc_co_u32_e32 v9, vcc, 0, v9, vcc
	v_add_co_u32_e32 v8, vcc, v10, v8
	v_addc_co_u32_e32 v9, vcc, 0, v9, vcc
	v_add_co_u32_e32 v4, vcc, v4, v8
	v_addc_co_u32_e32 v9, vcc, v7, v9, vcc
	v_mad_u64_u32 v[7:8], s[0:1], v5, v9, 0
	v_mul_hi_u32 v10, v5, v4
	v_add_co_u32_e32 v11, vcc, v10, v7
	v_addc_co_u32_e32 v12, vcc, 0, v8, vcc
	v_mad_u64_u32 v[7:8], s[0:1], v6, v4, 0
	v_mad_u64_u32 v[9:10], s[0:1], v6, v9, 0
	v_add_co_u32_e32 v4, vcc, v11, v7
	v_addc_co_u32_e32 v4, vcc, v12, v8, vcc
	v_addc_co_u32_e32 v7, vcc, 0, v10, vcc
	v_add_co_u32_e32 v4, vcc, v4, v9
	v_addc_co_u32_e32 v9, vcc, 0, v7, vcc
	v_mul_lo_u32 v10, s19, v4
	v_mul_lo_u32 v11, s18, v9
	v_mad_u64_u32 v[7:8], s[0:1], s18, v4, 0
	v_add3_u32 v8, v8, v11, v10
	v_sub_u32_e32 v10, v6, v8
	v_mov_b32_e32 v11, s19
	v_sub_co_u32_e32 v7, vcc, v5, v7
	v_subb_co_u32_e64 v10, s[0:1], v10, v11, vcc
	v_subrev_co_u32_e64 v11, s[0:1], s18, v7
	v_subbrev_co_u32_e64 v10, s[0:1], 0, v10, s[0:1]
	v_cmp_le_u32_e64 s[0:1], s19, v10
	v_cndmask_b32_e64 v12, 0, -1, s[0:1]
	v_cmp_le_u32_e64 s[0:1], s18, v11
	v_cndmask_b32_e64 v11, 0, -1, s[0:1]
	v_cmp_eq_u32_e64 s[0:1], s19, v10
	v_cndmask_b32_e64 v10, v12, v11, s[0:1]
	v_add_co_u32_e64 v11, s[0:1], 2, v4
	v_addc_co_u32_e64 v12, s[0:1], 0, v9, s[0:1]
	v_add_co_u32_e64 v13, s[0:1], 1, v4
	v_addc_co_u32_e64 v14, s[0:1], 0, v9, s[0:1]
	v_subb_co_u32_e32 v8, vcc, v6, v8, vcc
	v_cmp_ne_u32_e64 s[0:1], 0, v10
	v_cmp_le_u32_e32 vcc, s19, v8
	v_cndmask_b32_e64 v10, v14, v12, s[0:1]
	v_cndmask_b32_e64 v12, 0, -1, vcc
	v_cmp_le_u32_e32 vcc, s18, v7
	v_cndmask_b32_e64 v7, 0, -1, vcc
	v_cmp_eq_u32_e32 vcc, s19, v8
	v_cndmask_b32_e32 v7, v12, v7, vcc
	v_cmp_ne_u32_e32 vcc, 0, v7
	v_cndmask_b32_e64 v7, v13, v11, s[0:1]
	v_cndmask_b32_e32 v8, v9, v10, vcc
	v_cndmask_b32_e32 v7, v4, v7, vcc
.LBB0_4:                                ;   in Loop: Header=BB0_2 Depth=1
	s_andn2_saveexec_b64 s[0:1], s[20:21]
	s_cbranch_execz .LBB0_6
; %bb.5:                                ;   in Loop: Header=BB0_2 Depth=1
	v_cvt_f32_u32_e32 v4, s18
	s_sub_i32 s20, 0, s18
	v_rcp_iflag_f32_e32 v4, v4
	v_mul_f32_e32 v4, 0x4f7ffffe, v4
	v_cvt_u32_f32_e32 v4, v4
	v_mul_lo_u32 v7, s20, v4
	v_mul_hi_u32 v7, v4, v7
	v_add_u32_e32 v4, v4, v7
	v_mul_hi_u32 v4, v5, v4
	v_mul_lo_u32 v7, v4, s18
	v_add_u32_e32 v8, 1, v4
	v_sub_u32_e32 v7, v5, v7
	v_subrev_u32_e32 v9, s18, v7
	v_cmp_le_u32_e32 vcc, s18, v7
	v_cndmask_b32_e32 v7, v7, v9, vcc
	v_cndmask_b32_e32 v4, v4, v8, vcc
	v_add_u32_e32 v8, 1, v4
	v_cmp_le_u32_e32 vcc, s18, v7
	v_cndmask_b32_e32 v7, v4, v8, vcc
	v_mov_b32_e32 v8, v3
.LBB0_6:                                ;   in Loop: Header=BB0_2 Depth=1
	s_or_b64 exec, exec, s[0:1]
	v_mul_lo_u32 v4, v8, s18
	v_mul_lo_u32 v11, v7, s19
	v_mad_u64_u32 v[9:10], s[0:1], v7, s18, 0
	s_load_dwordx2 s[0:1], s[6:7], 0x0
	s_add_u32 s16, s16, 1
	v_add3_u32 v4, v10, v11, v4
	v_sub_co_u32_e32 v5, vcc, v5, v9
	v_subb_co_u32_e32 v4, vcc, v6, v4, vcc
	s_waitcnt lgkmcnt(0)
	v_mul_lo_u32 v4, s0, v4
	v_mul_lo_u32 v6, s1, v5
	v_mad_u64_u32 v[1:2], s[0:1], s0, v5, v[1:2]
	s_addc_u32 s17, s17, 0
	s_add_u32 s6, s6, 8
	v_add3_u32 v2, v6, v2, v4
	v_mov_b32_e32 v4, s10
	v_mov_b32_e32 v5, s11
	s_addc_u32 s7, s7, 0
	v_cmp_ge_u64_e32 vcc, s[16:17], v[4:5]
	s_add_u32 s14, s14, 8
	s_addc_u32 s15, s15, 0
	s_cbranch_vccnz .LBB0_9
; %bb.7:                                ;   in Loop: Header=BB0_2 Depth=1
	v_mov_b32_e32 v5, v7
	v_mov_b32_e32 v6, v8
	s_branch .LBB0_2
.LBB0_8:
	v_mov_b32_e32 v8, v6
	v_mov_b32_e32 v7, v5
.LBB0_9:
	s_lshl_b64 s[0:1], s[10:11], 3
	s_add_u32 s0, s12, s0
	s_addc_u32 s1, s13, s1
	s_load_dwordx2 s[6:7], s[0:1], 0x0
	s_load_dwordx2 s[10:11], s[4:5], 0x20
                                        ; implicit-def: $vgpr6
                                        ; implicit-def: $vgpr10
                                        ; implicit-def: $vgpr9
                                        ; implicit-def: $vgpr12
                                        ; implicit-def: $vgpr11
                                        ; implicit-def: $vgpr18
                                        ; implicit-def: $vgpr17
                                        ; implicit-def: $vgpr19
                                        ; implicit-def: $vgpr15
                                        ; implicit-def: $vgpr21
                                        ; implicit-def: $vgpr14
                                        ; implicit-def: $vgpr20
                                        ; implicit-def: $vgpr13
                                        ; implicit-def: $vgpr22
                                        ; implicit-def: $vgpr16
                                        ; implicit-def: $vgpr28
                                        ; implicit-def: $vgpr23
                                        ; implicit-def: $vgpr29
                                        ; implicit-def: $vgpr26
                                        ; implicit-def: $vgpr31
                                        ; implicit-def: $vgpr25
                                        ; implicit-def: $vgpr30
                                        ; implicit-def: $vgpr24
                                        ; implicit-def: $vgpr32
                                        ; implicit-def: $vgpr27
	s_waitcnt lgkmcnt(0)
	v_mad_u64_u32 v[1:2], s[0:1], s6, v7, v[1:2]
	v_mul_lo_u32 v3, s6, v8
	v_mul_lo_u32 v4, s7, v7
	s_mov_b32 s0, 0x10db20b
	v_mul_hi_u32 v5, v0, s0
	v_cmp_gt_u64_e32 vcc, s[10:11], v[7:8]
	v_add3_u32 v2, v4, v2, v3
	v_lshlrev_b64 v[2:3], 2, v[1:2]
	v_mul_u32_u24_e32 v4, 0xf3, v5
	v_sub_u32_e32 v0, v0, v4
                                        ; implicit-def: $vgpr4
                                        ; implicit-def: $vgpr5
                                        ; implicit-def: $vgpr7
                                        ; implicit-def: $vgpr8
                                        ; implicit-def: $vgpr1
	s_and_saveexec_b64 s[4:5], vcc
	s_cbranch_execz .LBB0_11
; %bb.10:
	v_mov_b32_e32 v1, 0
	v_mov_b32_e32 v4, s3
	v_add_co_u32_e64 v6, s[0:1], s2, v2
	v_addc_co_u32_e64 v7, s[0:1], v4, v3, s[0:1]
	v_lshlrev_b64 v[4:5], 2, v[0:1]
	v_add_co_u32_e64 v4, s[0:1], v6, v4
	v_addc_co_u32_e64 v5, s[0:1], v7, v5, s[0:1]
	s_movk_i32 s0, 0x1000
	v_add_co_u32_e64 v8, s[0:1], s0, v4
	v_addc_co_u32_e64 v9, s[0:1], 0, v5, s[0:1]
	s_movk_i32 s0, 0x2000
	;; [unrolled: 3-line block ×3, first 2 shown]
	v_add_co_u32_e64 v20, s[0:1], s0, v4
	global_load_dword v23, v[18:19], off offset:3472
	global_load_dword v27, v[4:5], off
	global_load_dword v16, v[4:5], off offset:972
	global_load_dword v24, v[4:5], off offset:2916
	global_load_dword v13, v[4:5], off offset:3888
	global_load_dword v25, v[8:9], off offset:1736
	global_load_dword v14, v[8:9], off offset:2708
	global_load_dword v26, v[18:19], off offset:556
	global_load_dword v15, v[18:19], off offset:1528
	v_addc_co_u32_e64 v21, s[0:1], 0, v5, s[0:1]
	global_load_dword v1, v[8:9], off offset:764
	global_load_dword v11, v[4:5], off offset:1944
	;; [unrolled: 1-line block ×6, first 2 shown]
	s_waitcnt vmcnt(14)
	v_lshrrev_b32_e32 v28, 16, v23
	s_waitcnt vmcnt(13)
	v_lshrrev_b32_e32 v32, 16, v27
	;; [unrolled: 2-line block ×10, first 2 shown]
	v_lshrrev_b32_e32 v12, 16, v11
	v_lshrrev_b32_e32 v9, 16, v1
	s_waitcnt vmcnt(0)
	v_lshrrev_b32_e32 v8, 16, v10
	v_lshrrev_b32_e32 v5, 16, v7
	v_lshrrev_b32_e32 v4, 16, v6
.LBB0_11:
	s_or_b64 exec, exec, s[4:5]
	v_add_f16_e32 v33, v26, v25
	v_fma_f16 v33, v33, -0.5, v27
	v_sub_f16_e32 v34, v30, v28
	s_movk_i32 s0, 0x3b9c
	v_sub_f16_e32 v36, v24, v25
	v_sub_f16_e32 v37, v23, v26
	s_mov_b32 s4, 0xbb9c
	v_fma_f16 v35, v34, s0, v33
	v_add_f16_e32 v36, v37, v36
	v_sub_f16_e32 v37, v31, v29
	s_movk_i32 s1, 0x38b4
	v_fma_f16 v33, v34, s4, v33
	s_mov_b32 s5, 0xb8b4
	v_fma_f16 v35, v37, s1, v35
	s_movk_i32 s6, 0x34f2
	v_fma_f16 v33, v37, s5, v33
	v_fma_f16 v35, v36, s6, v35
	;; [unrolled: 1-line block ×3, first 2 shown]
	v_sub_f16_e32 v36, v25, v24
	v_sub_f16_e32 v38, v26, v23
	v_add_f16_e32 v36, v38, v36
	v_add_f16_e32 v38, v23, v24
	v_fma_f16 v38, v38, -0.5, v27
	v_fma_f16 v39, v37, s4, v38
	v_fma_f16 v37, v37, s0, v38
	v_add_f16_e32 v27, v24, v27
	v_fma_f16 v38, v34, s1, v39
	v_fma_f16 v34, v34, s5, v37
	v_add_f16_e32 v27, v25, v27
	v_add_f16_e32 v27, v26, v27
	v_fma_f16 v37, v36, s6, v38
	v_fma_f16 v34, v36, s6, v34
	v_add_f16_e32 v36, v29, v31
	v_add_f16_e32 v27, v23, v27
	v_fma_f16 v36, v36, -0.5, v32
	v_sub_f16_e32 v23, v24, v23
	v_sub_f16_e32 v24, v25, v26
	;; [unrolled: 1-line block ×4, first 2 shown]
	v_add_f16_e32 v25, v26, v25
	v_fma_f16 v26, v23, s4, v36
	v_fma_f16 v36, v23, s0, v36
	;; [unrolled: 1-line block ×6, first 2 shown]
	v_add_f16_e32 v36, v28, v30
	v_fma_f16 v36, v36, -0.5, v32
	v_add_f16_e32 v32, v30, v32
	v_add_f16_e32 v32, v31, v32
	;; [unrolled: 1-line block ×3, first 2 shown]
	v_sub_f16_e32 v30, v31, v30
	v_fma_f16 v31, v24, s0, v36
	v_fma_f16 v24, v24, s4, v36
	v_add_f16_e32 v32, v28, v32
	v_fma_f16 v31, v23, s5, v31
	v_sub_f16_e32 v28, v29, v28
	v_fma_f16 v23, v23, s1, v24
	v_add_f16_e32 v24, v15, v14
	v_add_f16_e32 v28, v28, v30
	v_fma_f16 v24, v24, -0.5, v16
	v_sub_f16_e32 v29, v20, v18
	v_sub_f16_e32 v30, v13, v14
	;; [unrolled: 1-line block ×3, first 2 shown]
	v_add_f16_e32 v30, v36, v30
	v_fma_f16 v36, v29, s0, v24
	v_sub_f16_e32 v38, v21, v19
	v_fma_f16 v24, v29, s4, v24
	v_fma_f16 v36, v38, s1, v36
	;; [unrolled: 1-line block ×5, first 2 shown]
	v_sub_f16_e32 v30, v14, v13
	v_sub_f16_e32 v39, v15, v17
	v_add_f16_e32 v30, v39, v30
	v_add_f16_e32 v39, v17, v13
	v_fma_f16 v39, v39, -0.5, v16
	v_add_f16_e32 v16, v13, v16
	v_add_f16_e32 v16, v14, v16
	v_add_f16_e32 v16, v15, v16
	v_add_f16_e32 v16, v17, v16
	v_sub_f16_e32 v13, v13, v17
	v_sub_f16_e32 v14, v14, v15
	;; [unrolled: 1-line block ×4, first 2 shown]
	v_fma_f16 v40, v38, s4, v39
	v_fma_f16 v38, v38, s0, v39
	v_add_f16_e32 v15, v17, v15
	v_add_f16_e32 v17, v19, v21
	v_fma_f16 v39, v29, s1, v40
	v_fma_f16 v29, v29, s5, v38
	v_fma_f16 v17, v17, -0.5, v22
	v_fma_f16 v38, v30, s6, v39
	v_fma_f16 v29, v30, s6, v29
	;; [unrolled: 1-line block ×8, first 2 shown]
	v_add_f16_e32 v15, v18, v20
	v_fma_f16 v15, v15, -0.5, v22
	v_add_f16_e32 v22, v20, v22
	v_add_f16_e32 v22, v21, v22
	v_sub_f16_e32 v20, v21, v20
	v_add_f16_e32 v21, v19, v22
	v_add_f16_e32 v22, v18, v21
	v_sub_f16_e32 v18, v19, v18
	v_fma_f16 v19, v14, s0, v15
	v_fma_f16 v14, v14, s4, v15
	;; [unrolled: 1-line block ×4, first 2 shown]
	v_add_f16_e32 v13, v7, v10
	v_sub_f16_e32 v14, v1, v10
	v_sub_f16_e32 v15, v6, v7
	v_fma_f16 v13, v13, -0.5, v11
	v_add_f16_e32 v14, v15, v14
	v_sub_f16_e32 v15, v9, v4
	v_add_f16_e32 v18, v18, v20
	v_fma_f16 v19, v15, s0, v13
	v_sub_f16_e32 v20, v8, v5
	v_fma_f16 v13, v15, s4, v13
	v_fma_f16 v19, v20, s1, v19
	;; [unrolled: 1-line block ×5, first 2 shown]
	v_sub_f16_e32 v14, v10, v1
	v_sub_f16_e32 v21, v7, v6
	v_add_f16_e32 v14, v21, v14
	v_add_f16_e32 v21, v6, v1
	v_fma_f16 v21, v21, -0.5, v11
	v_add_f16_e32 v11, v1, v11
	v_add_f16_e32 v11, v10, v11
	;; [unrolled: 1-line block ×4, first 2 shown]
	v_sub_f16_e32 v1, v1, v6
	v_sub_f16_e32 v6, v10, v7
	;; [unrolled: 1-line block ×4, first 2 shown]
	v_fma_f16 v41, v20, s4, v21
	v_fma_f16 v20, v20, s0, v21
	v_add_f16_e32 v7, v10, v7
	v_add_f16_e32 v10, v5, v8
	v_fma_f16 v21, v15, s1, v41
	v_fma_f16 v15, v15, s5, v20
	v_fma_f16 v10, v10, -0.5, v12
	v_fma_f16 v20, v14, s6, v21
	v_fma_f16 v14, v14, s6, v15
	;; [unrolled: 1-line block ×6, first 2 shown]
	v_add_f16_e32 v10, v9, v12
	v_fma_f16 v15, v6, s5, v15
	v_add_f16_e32 v10, v8, v10
	v_fma_f16 v41, v7, s6, v15
	v_add_f16_e32 v7, v4, v9
	v_sub_f16_e32 v8, v8, v9
	v_add_f16_e32 v9, v5, v10
	v_add_f16_e32 v43, v4, v9
	v_sub_f16_e32 v4, v5, v4
	v_fma_f16 v7, v7, -0.5, v12
	v_add_f16_e32 v4, v4, v8
	v_fma_f16 v5, v6, s0, v7
	v_mul_f16_e32 v45, 0x34f2, v4
	v_fma_f16 v4, v6, s4, v7
	v_fma_f16 v44, v1, s5, v5
	;; [unrolled: 1-line block ×3, first 2 shown]
	v_mad_u32_u24 v47, v0, 10, 0
	v_pack_b32_f16 v5, v37, v34
	v_pack_b32_f16 v4, v27, v35
	ds_write_b64 v47, v[4:5]
	ds_write_b16 v47, v33 offset:8
	v_pack_b32_f16 v5, v38, v29
	v_pack_b32_f16 v4, v16, v36
	ds_write_b64 v47, v[4:5] offset:2430
	ds_write_b16 v47, v24 offset:2438
	v_pack_b32_f16 v5, v20, v14
	v_pack_b32_f16 v4, v11, v19
	v_mul_f16_e32 v15, 0x34f2, v28
	ds_write_b64 v47, v[4:5] offset:4860
	ds_write_b16 v47, v13 offset:4868
	v_lshlrev_b32_e32 v1, 3, v0
	v_pack_b32_f16 v4, v31, v23
	v_mul_f16_e32 v28, 0x34f2, v18
	v_sub_u32_e32 v1, v47, v1
	v_pk_add_f16 v15, v15, v4 op_sel_hi:[0,1]
	v_pack_b32_f16 v14, v32, v26
	v_pack_b32_f16 v4, v39, v40
	s_waitcnt lgkmcnt(0)
	s_barrier
	ds_read_u16 v19, v1 offset:2916
	ds_read_u16 v12, v1 offset:3402
	ds_read_u16 v5, v1
	ds_read_u16 v9, v1 offset:486
	ds_read_u16 v8, v1 offset:972
	;; [unrolled: 1-line block ×12, first 2 shown]
	s_waitcnt lgkmcnt(0)
	s_barrier
	ds_write_b64 v47, v[14:15]
	ds_write_b16 v47, v25 offset:8
	v_pk_add_f16 v15, v28, v4 op_sel_hi:[0,1]
	v_pack_b32_f16 v14, v22, v30
	v_pack_b32_f16 v4, v44, v46
	s_movk_i32 s0, 0xcd
	ds_write_b64 v47, v[14:15] offset:2430
	ds_write_b16 v47, v17 offset:2438
	v_pk_add_f16 v15, v45, v4 op_sel_hi:[0,1]
	v_mul_lo_u16_sdwa v4, v0, s0 dst_sel:DWORD dst_unused:UNUSED_PAD src0_sel:BYTE_0 src1_sel:DWORD
	v_lshrrev_b16_e32 v32, 10, v4
	v_mul_lo_u16_e32 v4, 5, v32
	v_pack_b32_f16 v14, v43, v41
	v_sub_u16_e32 v35, v0, v4
	v_mov_b32_e32 v4, 3
	ds_write_b64 v47, v[14:15] offset:4860
	ds_write_b16 v47, v42 offset:4868
	v_lshlrev_b32_sdwa v14, v4, v35 dst_sel:DWORD dst_unused:UNUSED_PAD src0_sel:DWORD src1_sel:BYTE_0
	v_add_u32_e32 v15, 0xf3, v0
	s_mov_b32 s0, 0xcccd
	s_waitcnt lgkmcnt(0)
	s_barrier
	global_load_dwordx2 v[22:23], v14, s[8:9]
	v_mul_u32_u24_sdwa v14, v15, s0 dst_sel:DWORD dst_unused:UNUSED_PAD src0_sel:WORD_0 src1_sel:DWORD
	v_lshrrev_b32_e32 v36, 18, v14
	v_mul_lo_u16_e32 v14, 5, v36
	v_sub_u16_e32 v37, v15, v14
	v_lshlrev_b32_e32 v14, 3, v37
	v_add_u32_e32 v16, 0x1e6, v0
	global_load_dwordx2 v[24:25], v14, s[8:9]
	v_mul_u32_u24_sdwa v14, v16, s0 dst_sel:DWORD dst_unused:UNUSED_PAD src0_sel:WORD_0 src1_sel:DWORD
	v_lshrrev_b32_e32 v38, 18, v14
	v_mul_lo_u16_e32 v14, 5, v38
	v_sub_u16_e32 v39, v16, v14
	v_lshlrev_b32_e32 v14, 3, v39
	v_add_u32_e32 v17, 0x2d9, v0
	global_load_dwordx2 v[26:27], v14, s[8:9]
	v_mul_u32_u24_sdwa v14, v17, s0 dst_sel:DWORD dst_unused:UNUSED_PAD src0_sel:WORD_0 src1_sel:DWORD
	v_lshrrev_b32_e32 v40, 18, v14
	v_mul_lo_u16_e32 v14, 5, v40
	v_sub_u16_e32 v41, v17, v14
	v_lshlrev_b32_e32 v14, 3, v41
	global_load_dwordx2 v[28:29], v14, s[8:9]
	v_add_u32_e32 v14, 0x3cc, v0
	v_mul_u32_u24_sdwa v30, v14, s0 dst_sel:DWORD dst_unused:UNUSED_PAD src0_sel:WORD_0 src1_sel:DWORD
	v_lshrrev_b32_e32 v42, 18, v30
	v_mul_lo_u16_e32 v30, 5, v42
	v_sub_u16_e32 v43, v14, v30
	v_lshlrev_b32_e32 v30, 3, v43
	global_load_dwordx2 v[30:31], v30, s[8:9]
	ds_read_u16 v44, v1 offset:2430
	ds_read_u16 v45, v1 offset:2916
	ds_read_u16 v46, v1 offset:3402
	ds_read_u16 v47, v1
	ds_read_u16 v48, v1 offset:486
	ds_read_u16 v49, v1 offset:972
	ds_read_u16 v50, v1 offset:1458
	ds_read_u16 v51, v1 offset:1944
	s_movk_i32 s4, 0x3aee
	s_mov_b32 s5, 0xbaee
	v_mul_u32_u24_e32 v32, 30, v32
	s_movk_i32 s0, 0x89
	s_waitcnt vmcnt(4) lgkmcnt(7)
	v_mul_f16_sdwa v52, v44, v22 dst_sel:DWORD dst_unused:UNUSED_PAD src0_sel:DWORD src1_sel:WORD_1
	v_fma_f16 v52, v33, v22, -v52
	v_mul_f16_sdwa v33, v33, v22 dst_sel:DWORD dst_unused:UNUSED_PAD src0_sel:DWORD src1_sel:WORD_1
	v_fma_f16 v22, v44, v22, v33
	ds_read_u16 v33, v1 offset:3888
	ds_read_u16 v44, v1 offset:4860
	;; [unrolled: 1-line block ×7, first 2 shown]
	s_waitcnt lgkmcnt(5)
	v_mul_f16_sdwa v58, v44, v23 dst_sel:DWORD dst_unused:UNUSED_PAD src0_sel:DWORD src1_sel:WORD_1
	v_fma_f16 v58, v34, v23, -v58
	v_mul_f16_sdwa v34, v34, v23 dst_sel:DWORD dst_unused:UNUSED_PAD src0_sel:DWORD src1_sel:WORD_1
	v_fma_f16 v23, v44, v23, v34
	s_waitcnt vmcnt(3)
	v_mul_f16_sdwa v34, v45, v24 dst_sel:DWORD dst_unused:UNUSED_PAD src0_sel:DWORD src1_sel:WORD_1
	v_fma_f16 v34, v19, v24, -v34
	v_mul_f16_sdwa v19, v19, v24 dst_sel:DWORD dst_unused:UNUSED_PAD src0_sel:DWORD src1_sel:WORD_1
	v_fma_f16 v19, v45, v24, v19
	s_waitcnt lgkmcnt(4)
	v_mul_f16_sdwa v24, v53, v25 dst_sel:DWORD dst_unused:UNUSED_PAD src0_sel:DWORD src1_sel:WORD_1
	v_fma_f16 v24, v21, v25, -v24
	v_mul_f16_sdwa v21, v21, v25 dst_sel:DWORD dst_unused:UNUSED_PAD src0_sel:DWORD src1_sel:WORD_1
	v_fma_f16 v21, v53, v25, v21
	s_waitcnt vmcnt(2)
	v_mul_f16_sdwa v25, v46, v26 dst_sel:DWORD dst_unused:UNUSED_PAD src0_sel:DWORD src1_sel:WORD_1
	v_fma_f16 v25, v12, v26, -v25
	v_mul_f16_sdwa v12, v12, v26 dst_sel:DWORD dst_unused:UNUSED_PAD src0_sel:DWORD src1_sel:WORD_1
	v_fma_f16 v12, v46, v26, v12
	;; [unrolled: 10-line block ×3, first 2 shown]
	s_waitcnt lgkmcnt(2)
	v_mul_f16_sdwa v28, v55, v29 dst_sel:DWORD dst_unused:UNUSED_PAD src0_sel:DWORD src1_sel:WORD_1
	v_fma_f16 v28, v13, v29, -v28
	v_mul_f16_sdwa v13, v13, v29 dst_sel:DWORD dst_unused:UNUSED_PAD src0_sel:DWORD src1_sel:WORD_1
	v_fma_f16 v13, v55, v29, v13
	s_waitcnt vmcnt(0) lgkmcnt(0)
	v_mul_f16_sdwa v29, v57, v30 dst_sel:DWORD dst_unused:UNUSED_PAD src0_sel:DWORD src1_sel:WORD_1
	v_fma_f16 v29, v18, v30, -v29
	v_mul_f16_sdwa v18, v18, v30 dst_sel:DWORD dst_unused:UNUSED_PAD src0_sel:DWORD src1_sel:WORD_1
	v_fma_f16 v18, v57, v30, v18
	v_mul_f16_sdwa v30, v56, v31 dst_sel:DWORD dst_unused:UNUSED_PAD src0_sel:DWORD src1_sel:WORD_1
	v_fma_f16 v30, v10, v31, -v30
	v_mul_f16_sdwa v10, v10, v31 dst_sel:DWORD dst_unused:UNUSED_PAD src0_sel:DWORD src1_sel:WORD_1
	v_fma_f16 v10, v56, v31, v10
	v_add_f16_e32 v31, v52, v58
	v_fma_f16 v31, v31, -0.5, v5
	v_sub_f16_e32 v33, v22, v23
	v_fma_f16 v44, v33, s4, v31
	v_fma_f16 v31, v33, s5, v31
	v_add_f16_e32 v33, v47, v22
	v_add_f16_e32 v22, v22, v23
	;; [unrolled: 1-line block ×4, first 2 shown]
	v_fma_f16 v22, v22, -0.5, v47
	v_add_f16_e32 v23, v5, v58
	v_sub_f16_e32 v5, v52, v58
	v_fma_f16 v45, v5, s5, v22
	v_fma_f16 v22, v5, s4, v22
	v_add_f16_e32 v5, v34, v24
	v_fma_f16 v5, v5, -0.5, v9
	v_sub_f16_e32 v46, v19, v21
	v_fma_f16 v47, v46, s4, v5
	v_fma_f16 v46, v46, s5, v5
	v_add_f16_e32 v5, v25, v26
	v_fma_f16 v5, v5, -0.5, v8
	;; [unrolled: 5-line block ×4, first 2 shown]
	v_sub_f16_e32 v56, v18, v10
	v_fma_f16 v57, v56, s4, v5
	v_fma_f16 v56, v56, s5, v5
	v_mov_b32_e32 v5, 1
	v_lshlrev_b32_sdwa v35, v5, v35 dst_sel:DWORD dst_unused:UNUSED_PAD src0_sel:DWORD src1_sel:BYTE_0
	v_add3_u32 v32, 0, v32, v35
	s_barrier
	ds_write_b16 v32, v23
	ds_write_b16 v32, v44 offset:10
	ds_write_b16 v32, v31 offset:20
	v_lshlrev_b32_e32 v23, 1, v37
	v_mul_u32_u24_e32 v31, 30, v36
	v_add_f16_e32 v9, v9, v34
	v_add3_u32 v23, 0, v31, v23
	v_add_f16_e32 v9, v9, v24
	ds_write_b16 v23, v9
	ds_write_b16 v23, v47 offset:10
	ds_write_b16 v23, v46 offset:20
	v_lshlrev_b32_e32 v9, 1, v39
	v_mul_u32_u24_e32 v31, 30, v38
	v_add_f16_e32 v8, v8, v25
	v_add3_u32 v31, 0, v31, v9
	v_add_f16_e32 v8, v8, v26
	;; [unrolled: 8-line block ×4, first 2 shown]
	ds_write_b16 v36, v6
	ds_write_b16 v36, v57 offset:10
	ds_write_b16 v36, v56 offset:20
	s_waitcnt lgkmcnt(0)
	s_barrier
	ds_read_u16 v37, v1 offset:2916
	ds_read_u16 v38, v1 offset:3402
	ds_read_u16 v39, v1
	ds_read_u16 v9, v1 offset:486
	ds_read_u16 v8, v1 offset:972
	;; [unrolled: 1-line block ×12, first 2 shown]
	s_waitcnt lgkmcnt(0)
	s_barrier
	ds_write_b16 v32, v33
	ds_write_b16 v32, v45 offset:10
	ds_write_b16 v32, v22 offset:20
	v_add_f16_e32 v22, v48, v19
	v_add_f16_e32 v19, v19, v21
	;; [unrolled: 1-line block ×3, first 2 shown]
	v_fma_f16 v19, v19, -0.5, v48
	v_sub_f16_e32 v21, v34, v24
	v_fma_f16 v24, v21, s5, v19
	v_fma_f16 v19, v21, s4, v19
	ds_write_b16 v23, v22
	ds_write_b16 v23, v24 offset:10
	ds_write_b16 v23, v19 offset:20
	v_add_f16_e32 v19, v49, v12
	v_add_f16_e32 v12, v12, v20
	v_add_f16_e32 v19, v19, v20
	v_fma_f16 v12, v12, -0.5, v49
	v_sub_f16_e32 v20, v25, v26
	v_fma_f16 v21, v20, s5, v12
	v_fma_f16 v12, v20, s4, v12
	v_add_f16_e32 v20, v50, v11
	v_add_f16_e32 v11, v11, v13
	v_add_f16_e32 v20, v20, v13
	v_fma_f16 v11, v11, -0.5, v50
	v_sub_f16_e32 v13, v27, v28
	v_fma_f16 v22, v13, s5, v11
	v_fma_f16 v11, v13, s4, v11
	;; [unrolled: 7-line block ×3, first 2 shown]
	ds_write_b16 v31, v19
	ds_write_b16 v31, v21 offset:10
	ds_write_b16 v31, v12 offset:20
	ds_write_b16 v35, v20
	ds_write_b16 v35, v22 offset:10
	ds_write_b16 v35, v11 offset:20
	;; [unrolled: 3-line block ×3, first 2 shown]
	v_mul_lo_u16_sdwa v10, v0, s0 dst_sel:DWORD dst_unused:UNUSED_PAD src0_sel:BYTE_0 src1_sel:DWORD
	v_lshrrev_b16_e32 v24, 11, v10
	v_mul_lo_u16_e32 v10, 15, v24
	v_sub_u16_e32 v25, v0, v10
	s_mov_b32 s0, 0x8889
	v_lshlrev_b32_sdwa v10, v4, v25 dst_sel:DWORD dst_unused:UNUSED_PAD src0_sel:DWORD src1_sel:BYTE_0
	v_mul_u32_u24_sdwa v12, v15, s0 dst_sel:DWORD dst_unused:UNUSED_PAD src0_sel:WORD_0 src1_sel:DWORD
	s_waitcnt lgkmcnt(0)
	s_barrier
	global_load_dwordx2 v[10:11], v10, s[8:9] offset:40
	v_lshrrev_b32_e32 v26, 19, v12
	v_mul_lo_u16_e32 v12, 15, v26
	v_sub_u16_e32 v27, v15, v12
	v_mul_u32_u24_sdwa v18, v16, s0 dst_sel:DWORD dst_unused:UNUSED_PAD src0_sel:WORD_0 src1_sel:DWORD
	v_lshlrev_b32_e32 v12, 3, v27
	global_load_dwordx2 v[12:13], v12, s[8:9] offset:40
	v_lshrrev_b32_e32 v28, 19, v18
	v_mul_lo_u16_e32 v18, 15, v28
	v_sub_u16_e32 v29, v16, v18
	v_mul_u32_u24_sdwa v20, v17, s0 dst_sel:DWORD dst_unused:UNUSED_PAD src0_sel:WORD_0 src1_sel:DWORD
	v_lshlrev_b32_e32 v18, 3, v29
	;; [unrolled: 6-line block ×3, first 2 shown]
	global_load_dwordx2 v[20:21], v20, s[8:9] offset:40
	v_lshrrev_b32_e32 v32, 19, v22
	v_mul_lo_u16_e32 v22, 15, v32
	v_sub_u16_e32 v33, v14, v22
	v_lshlrev_b32_e32 v22, 3, v33
	global_load_dwordx2 v[22:23], v22, s[8:9] offset:40
	ds_read_u16 v34, v1 offset:2430
	ds_read_u16 v35, v1 offset:2916
	ds_read_u16 v36, v1 offset:3402
	ds_read_u16 v45, v1
	ds_read_u16 v48, v1 offset:486
	ds_read_u16 v49, v1 offset:972
	;; [unrolled: 1-line block ×4, first 2 shown]
	v_lshlrev_b32_sdwa v25, v5, v25 dst_sel:DWORD dst_unused:UNUSED_PAD src0_sel:DWORD src1_sel:BYTE_0
	v_mul_u32_u24_e32 v24, 0x5a, v24
	v_add3_u32 v24, 0, v24, v25
	v_mul_u32_u24_e32 v25, 0x5a, v26
	s_movk_i32 s0, 0x6d
	s_waitcnt vmcnt(4) lgkmcnt(7)
	v_mul_f16_sdwa v53, v34, v10 dst_sel:DWORD dst_unused:UNUSED_PAD src0_sel:DWORD src1_sel:WORD_1
	v_fma_f16 v53, v41, v10, -v53
	v_mul_f16_sdwa v41, v41, v10 dst_sel:DWORD dst_unused:UNUSED_PAD src0_sel:DWORD src1_sel:WORD_1
	v_fma_f16 v10, v34, v10, v41
	ds_read_u16 v34, v1 offset:3888
	ds_read_u16 v41, v1 offset:4860
	;; [unrolled: 1-line block ×7, first 2 shown]
	s_waitcnt lgkmcnt(5)
	v_mul_f16_sdwa v59, v41, v11 dst_sel:DWORD dst_unused:UNUSED_PAD src0_sel:DWORD src1_sel:WORD_1
	v_fma_f16 v59, v47, v11, -v59
	v_mul_f16_sdwa v47, v47, v11 dst_sel:DWORD dst_unused:UNUSED_PAD src0_sel:DWORD src1_sel:WORD_1
	v_fma_f16 v11, v41, v11, v47
	s_waitcnt vmcnt(3)
	v_mul_f16_sdwa v41, v35, v12 dst_sel:DWORD dst_unused:UNUSED_PAD src0_sel:DWORD src1_sel:WORD_1
	v_fma_f16 v41, v37, v12, -v41
	v_mul_f16_sdwa v37, v37, v12 dst_sel:DWORD dst_unused:UNUSED_PAD src0_sel:DWORD src1_sel:WORD_1
	v_fma_f16 v12, v35, v12, v37
	s_waitcnt lgkmcnt(4)
	v_mul_f16_sdwa v35, v54, v13 dst_sel:DWORD dst_unused:UNUSED_PAD src0_sel:DWORD src1_sel:WORD_1
	v_mul_f16_sdwa v37, v42, v13 dst_sel:DWORD dst_unused:UNUSED_PAD src0_sel:DWORD src1_sel:WORD_1
	v_fma_f16 v35, v42, v13, -v35
	v_fma_f16 v13, v54, v13, v37
	s_waitcnt vmcnt(2)
	v_mul_f16_sdwa v37, v36, v18 dst_sel:DWORD dst_unused:UNUSED_PAD src0_sel:DWORD src1_sel:WORD_1
	v_fma_f16 v37, v38, v18, -v37
	v_mul_f16_sdwa v38, v38, v18 dst_sel:DWORD dst_unused:UNUSED_PAD src0_sel:DWORD src1_sel:WORD_1
	v_fma_f16 v18, v36, v18, v38
	s_waitcnt lgkmcnt(3)
	v_mul_f16_sdwa v36, v55, v19 dst_sel:DWORD dst_unused:UNUSED_PAD src0_sel:DWORD src1_sel:WORD_1
	v_mul_f16_sdwa v38, v43, v19 dst_sel:DWORD dst_unused:UNUSED_PAD src0_sel:DWORD src1_sel:WORD_1
	v_fma_f16 v36, v43, v19, -v36
	;; [unrolled: 10-line block ×3, first 2 shown]
	v_fma_f16 v21, v56, v21, v40
	s_waitcnt vmcnt(0) lgkmcnt(0)
	v_mul_f16_sdwa v40, v58, v22 dst_sel:DWORD dst_unused:UNUSED_PAD src0_sel:DWORD src1_sel:WORD_1
	v_mul_f16_sdwa v42, v52, v22 dst_sel:DWORD dst_unused:UNUSED_PAD src0_sel:DWORD src1_sel:WORD_1
	v_fma_f16 v40, v52, v22, -v40
	v_fma_f16 v22, v58, v22, v42
	v_mul_f16_sdwa v42, v57, v23 dst_sel:DWORD dst_unused:UNUSED_PAD src0_sel:DWORD src1_sel:WORD_1
	v_mul_f16_sdwa v43, v46, v23 dst_sel:DWORD dst_unused:UNUSED_PAD src0_sel:DWORD src1_sel:WORD_1
	v_fma_f16 v42, v46, v23, -v42
	v_fma_f16 v23, v57, v23, v43
	v_add_f16_e32 v43, v53, v59
	v_fma_f16 v43, v43, -0.5, v39
	v_sub_f16_e32 v44, v10, v11
	v_fma_f16 v46, v44, s4, v43
	v_fma_f16 v43, v44, s5, v43
	v_add_f16_e32 v44, v45, v10
	v_add_f16_e32 v10, v10, v11
	;; [unrolled: 1-line block ×3, first 2 shown]
	v_fma_f16 v10, v10, -0.5, v45
	v_add_f16_e32 v11, v39, v53
	v_sub_f16_e32 v39, v53, v59
	v_add_f16_e32 v11, v11, v59
	v_fma_f16 v45, v39, s5, v10
	v_fma_f16 v10, v39, s4, v10
	v_add_f16_e32 v39, v41, v35
	v_fma_f16 v39, v39, -0.5, v9
	v_sub_f16_e32 v47, v12, v13
	s_barrier
	ds_write_b16 v24, v11
	ds_write_b16 v24, v46 offset:30
	ds_write_b16 v24, v43 offset:60
	v_lshlrev_b32_e32 v11, 1, v27
	v_add_f16_e32 v9, v9, v41
	v_fma_f16 v52, v47, s4, v39
	v_fma_f16 v39, v47, s5, v39
	v_add_f16_e32 v47, v37, v36
	v_add3_u32 v11, 0, v25, v11
	v_add_f16_e32 v9, v9, v35
	v_fma_f16 v47, v47, -0.5, v8
	v_sub_f16_e32 v53, v18, v19
	ds_write_b16 v11, v9
	ds_write_b16 v11, v52 offset:30
	ds_write_b16 v11, v39 offset:60
	v_lshlrev_b32_e32 v9, 1, v29
	v_mul_u32_u24_e32 v25, 0x5a, v28
	v_add_f16_e32 v8, v8, v37
	v_fma_f16 v54, v53, s4, v47
	v_fma_f16 v47, v53, s5, v47
	v_add_f16_e32 v53, v38, v34
	v_add3_u32 v25, 0, v25, v9
	v_add_f16_e32 v8, v8, v36
	v_fma_f16 v53, v53, -0.5, v7
	v_sub_f16_e32 v55, v20, v21
	ds_write_b16 v25, v8
	ds_write_b16 v25, v54 offset:30
	ds_write_b16 v25, v47 offset:60
	v_lshlrev_b32_e32 v8, 1, v31
	v_mul_u32_u24_e32 v9, 0x5a, v30
	v_add_f16_e32 v7, v7, v38
	v_fma_f16 v56, v55, s4, v53
	v_fma_f16 v53, v55, s5, v53
	v_add_f16_e32 v55, v40, v42
	v_add3_u32 v26, 0, v9, v8
	v_add_f16_e32 v7, v7, v34
	v_fma_f16 v55, v55, -0.5, v6
	ds_write_b16 v26, v7
	ds_write_b16 v26, v56 offset:30
	ds_write_b16 v26, v53 offset:60
	v_lshlrev_b32_e32 v7, 1, v33
	v_mul_u32_u24_e32 v8, 0x5a, v32
	v_add_f16_e32 v6, v6, v40
	v_sub_f16_e32 v57, v22, v23
	v_add3_u32 v27, 0, v8, v7
	v_add_f16_e32 v6, v6, v42
	v_fma_f16 v58, v57, s4, v55
	v_fma_f16 v55, v57, s5, v55
	ds_write_b16 v27, v6
	ds_write_b16 v27, v58 offset:30
	ds_write_b16 v27, v55 offset:60
	s_waitcnt lgkmcnt(0)
	s_barrier
	ds_read_u16 v28, v1 offset:2916
	ds_read_u16 v29, v1 offset:3402
	ds_read_u16 v30, v1
	ds_read_u16 v9, v1 offset:486
	ds_read_u16 v8, v1 offset:972
	;; [unrolled: 1-line block ×12, first 2 shown]
	s_waitcnt lgkmcnt(0)
	s_barrier
	ds_write_b16 v24, v44
	ds_write_b16 v24, v45 offset:30
	ds_write_b16 v24, v10 offset:60
	v_add_f16_e32 v10, v48, v12
	v_add_f16_e32 v12, v12, v13
	;; [unrolled: 1-line block ×3, first 2 shown]
	v_fma_f16 v12, v12, -0.5, v48
	v_sub_f16_e32 v13, v41, v35
	v_fma_f16 v24, v13, s5, v12
	v_fma_f16 v12, v13, s4, v12
	ds_write_b16 v11, v10
	ds_write_b16 v11, v24 offset:30
	ds_write_b16 v11, v12 offset:60
	v_add_f16_e32 v11, v18, v19
	v_fma_f16 v11, v11, -0.5, v49
	v_sub_f16_e32 v12, v37, v36
	v_add_f16_e32 v10, v49, v18
	v_fma_f16 v13, v12, s5, v11
	v_fma_f16 v11, v12, s4, v11
	v_add_f16_e32 v12, v50, v20
	v_add_f16_e32 v18, v20, v21
	;; [unrolled: 1-line block ×4, first 2 shown]
	v_fma_f16 v18, v18, -0.5, v50
	v_sub_f16_e32 v19, v38, v34
	v_add_f16_e32 v21, v22, v23
	v_fma_f16 v20, v19, s5, v18
	v_fma_f16 v18, v19, s4, v18
	v_add_f16_e32 v19, v51, v22
	v_fma_f16 v21, v21, -0.5, v51
	v_sub_f16_e32 v22, v40, v42
	v_add_f16_e32 v19, v19, v23
	v_fma_f16 v23, v22, s5, v21
	v_fma_f16 v21, v22, s4, v21
	ds_write_b16 v25, v10
	ds_write_b16 v25, v13 offset:30
	ds_write_b16 v25, v11 offset:60
	ds_write_b16 v26, v12
	ds_write_b16 v26, v20 offset:30
	ds_write_b16 v26, v18 offset:60
	;; [unrolled: 3-line block ×3, first 2 shown]
	v_mul_lo_u16_sdwa v10, v0, s0 dst_sel:DWORD dst_unused:UNUSED_PAD src0_sel:BYTE_0 src1_sel:DWORD
	v_sub_u16_sdwa v11, v0, v10 dst_sel:DWORD dst_unused:UNUSED_PAD src0_sel:DWORD src1_sel:BYTE_1
	v_lshrrev_b16_e32 v11, 1, v11
	v_and_b32_e32 v11, 0x7f, v11
	s_movk_i32 s0, 0x2d83
	v_add_u16_sdwa v10, v11, v10 dst_sel:DWORD dst_unused:UNUSED_PAD src0_sel:DWORD src1_sel:BYTE_1
	v_mul_u32_u24_sdwa v18, v16, s0 dst_sel:DWORD dst_unused:UNUSED_PAD src0_sel:WORD_0 src1_sel:DWORD
	v_mul_u32_u24_sdwa v22, v14, s0 dst_sel:DWORD dst_unused:UNUSED_PAD src0_sel:WORD_0 src1_sel:DWORD
	v_lshrrev_b16_e32 v24, 5, v10
	v_lshrrev_b32_e32 v27, 19, v18
	v_lshrrev_b32_e32 v37, 19, v22
	v_mul_lo_u16_e32 v10, 45, v24
	v_mul_lo_u16_e32 v18, 45, v27
	;; [unrolled: 1-line block ×3, first 2 shown]
	v_sub_u16_e32 v25, v0, v10
	v_sub_u16_e32 v34, v16, v18
	v_sub_u16_e32 v38, v14, v22
	v_lshlrev_b32_sdwa v4, v4, v25 dst_sel:DWORD dst_unused:UNUSED_PAD src0_sel:DWORD src1_sel:BYTE_0
	v_lshlrev_b32_e32 v18, 3, v34
	v_lshlrev_b32_e32 v22, 3, v38
	s_waitcnt lgkmcnt(0)
	s_barrier
	global_load_dwordx2 v[10:11], v4, s[8:9] offset:160
	v_mul_u32_u24_sdwa v20, v17, s0 dst_sel:DWORD dst_unused:UNUSED_PAD src0_sel:WORD_0 src1_sel:DWORD
	global_load_dwordx2 v[18:19], v18, s[8:9] offset:160
	v_lshrrev_b32_e32 v35, 19, v20
	global_load_dwordx2 v[22:23], v22, s[8:9] offset:160
	v_mul_u32_u24_sdwa v4, v15, s0 dst_sel:DWORD dst_unused:UNUSED_PAD src0_sel:WORD_0 src1_sel:DWORD
	v_lshrrev_b32_e32 v4, 19, v4
	v_mul_lo_u16_e32 v12, 45, v4
	v_sub_u16_e32 v26, v15, v12
	v_lshlrev_b32_e32 v12, 3, v26
	global_load_dwordx2 v[12:13], v12, s[8:9] offset:160
	v_mul_lo_u16_e32 v20, 45, v35
	v_sub_u16_e32 v36, v17, v20
	v_lshlrev_b32_e32 v20, 3, v36
	global_load_dwordx2 v[20:21], v20, s[8:9] offset:160
	ds_read_u16 v40, v1 offset:2430
	ds_read_u16 v41, v1 offset:2916
	;; [unrolled: 1-line block ×3, first 2 shown]
	ds_read_u16 v44, v1
	ds_read_u16 v45, v1 offset:486
	ds_read_u16 v48, v1 offset:972
	;; [unrolled: 1-line block ×4, first 2 shown]
	v_lshlrev_b32_sdwa v5, v5, v25 dst_sel:DWORD dst_unused:UNUSED_PAD src0_sel:DWORD src1_sel:BYTE_0
	v_mul_u32_u24_e32 v24, 0x10e, v24
	v_add3_u32 v5, 0, v24, v5
	v_mul_u32_u24_e32 v4, 0x10e, v4
	s_movk_i32 s0, 0x87
	v_cmp_gt_u32_e64 s[0:1], s0, v0
	s_waitcnt vmcnt(4) lgkmcnt(7)
	v_mul_f16_sdwa v51, v40, v10 dst_sel:DWORD dst_unused:UNUSED_PAD src0_sel:DWORD src1_sel:WORD_1
	v_fma_f16 v51, v32, v10, -v51
	v_mul_f16_sdwa v32, v32, v10 dst_sel:DWORD dst_unused:UNUSED_PAD src0_sel:DWORD src1_sel:WORD_1
	v_fma_f16 v10, v40, v10, v32
	ds_read_u16 v32, v1 offset:3888
	ds_read_u16 v40, v1 offset:4860
	;; [unrolled: 1-line block ×7, first 2 shown]
	s_waitcnt lgkmcnt(5)
	v_mul_f16_sdwa v58, v40, v11 dst_sel:DWORD dst_unused:UNUSED_PAD src0_sel:DWORD src1_sel:WORD_1
	v_fma_f16 v58, v47, v11, -v58
	v_mul_f16_sdwa v47, v47, v11 dst_sel:DWORD dst_unused:UNUSED_PAD src0_sel:DWORD src1_sel:WORD_1
	v_fma_f16 v11, v40, v11, v47
	v_add_f16_e32 v25, v51, v58
	s_waitcnt vmcnt(1)
	v_mul_f16_sdwa v40, v41, v12 dst_sel:DWORD dst_unused:UNUSED_PAD src0_sel:DWORD src1_sel:WORD_1
	v_fma_f16 v40, v28, v12, -v40
	v_mul_f16_sdwa v28, v28, v12 dst_sel:DWORD dst_unused:UNUSED_PAD src0_sel:DWORD src1_sel:WORD_1
	v_fma_f16 v12, v41, v12, v28
	s_waitcnt lgkmcnt(4)
	v_mul_f16_sdwa v28, v53, v13 dst_sel:DWORD dst_unused:UNUSED_PAD src0_sel:DWORD src1_sel:WORD_1
	v_fma_f16 v28, v33, v13, -v28
	v_mul_f16_sdwa v33, v33, v13 dst_sel:DWORD dst_unused:UNUSED_PAD src0_sel:DWORD src1_sel:WORD_1
	v_fma_f16 v13, v53, v13, v33
	v_mul_f16_sdwa v33, v42, v18 dst_sel:DWORD dst_unused:UNUSED_PAD src0_sel:DWORD src1_sel:WORD_1
	v_fma_f16 v33, v29, v18, -v33
	v_mul_f16_sdwa v29, v29, v18 dst_sel:DWORD dst_unused:UNUSED_PAD src0_sel:DWORD src1_sel:WORD_1
	v_fma_f16 v18, v42, v18, v29
	s_waitcnt lgkmcnt(3)
	v_mul_f16_sdwa v29, v54, v19 dst_sel:DWORD dst_unused:UNUSED_PAD src0_sel:DWORD src1_sel:WORD_1
	v_fma_f16 v29, v39, v19, -v29
	v_mul_f16_sdwa v39, v39, v19 dst_sel:DWORD dst_unused:UNUSED_PAD src0_sel:DWORD src1_sel:WORD_1
	v_fma_f16 v19, v54, v19, v39
	s_waitcnt vmcnt(0)
	v_mul_f16_sdwa v39, v32, v20 dst_sel:DWORD dst_unused:UNUSED_PAD src0_sel:DWORD src1_sel:WORD_1
	v_fma_f16 v39, v31, v20, -v39
	v_mul_f16_sdwa v31, v31, v20 dst_sel:DWORD dst_unused:UNUSED_PAD src0_sel:DWORD src1_sel:WORD_1
	v_fma_f16 v20, v32, v20, v31
	s_waitcnt lgkmcnt(2)
	v_mul_f16_sdwa v31, v55, v21 dst_sel:DWORD dst_unused:UNUSED_PAD src0_sel:DWORD src1_sel:WORD_1
	v_mul_f16_sdwa v32, v43, v21 dst_sel:DWORD dst_unused:UNUSED_PAD src0_sel:DWORD src1_sel:WORD_1
	v_fma_f16 v31, v43, v21, -v31
	v_fma_f16 v21, v55, v21, v32
	s_waitcnt lgkmcnt(0)
	v_mul_f16_sdwa v32, v57, v22 dst_sel:DWORD dst_unused:UNUSED_PAD src0_sel:DWORD src1_sel:WORD_1
	v_mul_f16_sdwa v41, v52, v22 dst_sel:DWORD dst_unused:UNUSED_PAD src0_sel:DWORD src1_sel:WORD_1
	v_fma_f16 v32, v52, v22, -v32
	v_fma_f16 v22, v57, v22, v41
	v_mul_f16_sdwa v41, v56, v23 dst_sel:DWORD dst_unused:UNUSED_PAD src0_sel:DWORD src1_sel:WORD_1
	v_mul_f16_sdwa v42, v46, v23 dst_sel:DWORD dst_unused:UNUSED_PAD src0_sel:DWORD src1_sel:WORD_1
	v_fma_f16 v41, v46, v23, -v41
	v_fma_f16 v23, v56, v23, v42
	v_fma_f16 v25, v25, -0.5, v30
	v_sub_f16_e32 v42, v10, v11
	v_fma_f16 v43, v42, s4, v25
	v_fma_f16 v25, v42, s5, v25
	v_add_f16_e32 v42, v44, v10
	v_add_f16_e32 v10, v10, v11
	;; [unrolled: 1-line block ×3, first 2 shown]
	v_fma_f16 v10, v10, -0.5, v44
	v_add_f16_e32 v11, v30, v51
	v_sub_f16_e32 v30, v51, v58
	v_add_f16_e32 v11, v11, v58
	v_fma_f16 v44, v30, s5, v10
	v_fma_f16 v10, v30, s4, v10
	v_add_f16_e32 v30, v40, v28
	v_fma_f16 v30, v30, -0.5, v9
	v_sub_f16_e32 v46, v12, v13
	s_barrier
	ds_write_b16 v5, v11
	ds_write_b16 v5, v43 offset:90
	ds_write_b16 v5, v25 offset:180
	v_lshlrev_b32_e32 v11, 1, v26
	v_add_f16_e32 v9, v9, v40
	v_fma_f16 v47, v46, s4, v30
	v_fma_f16 v30, v46, s5, v30
	v_add_f16_e32 v46, v33, v29
	v_add3_u32 v4, 0, v4, v11
	v_add_f16_e32 v9, v9, v28
	v_fma_f16 v46, v46, -0.5, v8
	v_sub_f16_e32 v51, v18, v19
	ds_write_b16 v4, v9
	ds_write_b16 v4, v47 offset:90
	ds_write_b16 v4, v30 offset:180
	v_lshlrev_b32_e32 v9, 1, v34
	v_mul_u32_u24_e32 v11, 0x10e, v27
	v_add_f16_e32 v8, v8, v33
	v_fma_f16 v52, v51, s4, v46
	v_fma_f16 v46, v51, s5, v46
	v_add_f16_e32 v51, v39, v31
	v_add3_u32 v11, 0, v11, v9
	v_add_f16_e32 v8, v8, v29
	v_fma_f16 v51, v51, -0.5, v7
	v_sub_f16_e32 v53, v20, v21
	ds_write_b16 v11, v8
	ds_write_b16 v11, v52 offset:90
	ds_write_b16 v11, v46 offset:180
	v_lshlrev_b32_e32 v8, 1, v36
	v_mul_u32_u24_e32 v9, 0x10e, v35
	v_add_f16_e32 v7, v7, v39
	v_fma_f16 v54, v53, s4, v51
	v_fma_f16 v51, v53, s5, v51
	v_add_f16_e32 v53, v32, v41
	v_add3_u32 v24, 0, v9, v8
	v_add_f16_e32 v7, v7, v31
	v_fma_f16 v53, v53, -0.5, v6
	ds_write_b16 v24, v7
	ds_write_b16 v24, v54 offset:90
	ds_write_b16 v24, v51 offset:180
	v_lshlrev_b32_e32 v7, 1, v38
	v_mul_u32_u24_e32 v8, 0x10e, v37
	v_add_f16_e32 v6, v6, v32
	v_sub_f16_e32 v55, v22, v23
	v_add3_u32 v25, 0, v8, v7
	v_add_f16_e32 v6, v6, v41
	v_fma_f16 v56, v55, s4, v53
	v_fma_f16 v53, v55, s5, v53
	ds_write_b16 v25, v6
	ds_write_b16 v25, v56 offset:90
	ds_write_b16 v25, v53 offset:180
	s_waitcnt lgkmcnt(0)
	s_barrier
	ds_read_u16 v26, v1 offset:2916
	ds_read_u16 v27, v1 offset:3402
	ds_read_u16 v30, v1
	ds_read_u16 v9, v1 offset:486
	ds_read_u16 v8, v1 offset:972
	;; [unrolled: 1-line block ×12, first 2 shown]
	s_waitcnt lgkmcnt(0)
	s_barrier
	ds_write_b16 v5, v42
	ds_write_b16 v5, v44 offset:90
	ds_write_b16 v5, v10 offset:180
	v_add_f16_e32 v10, v12, v13
	v_add_f16_e32 v5, v45, v12
	v_fma_f16 v10, v10, -0.5, v45
	v_sub_f16_e32 v12, v40, v28
	v_add_f16_e32 v5, v5, v13
	v_fma_f16 v13, v12, s5, v10
	v_fma_f16 v10, v12, s4, v10
	v_add_f16_e32 v12, v48, v18
	v_add_f16_e32 v18, v18, v19
	v_add_f16_e32 v12, v12, v19
	v_fma_f16 v18, v18, -0.5, v48
	v_sub_f16_e32 v19, v33, v29
	v_fma_f16 v28, v19, s5, v18
	v_fma_f16 v18, v19, s4, v18
	v_add_f16_e32 v19, v49, v20
	v_add_f16_e32 v20, v20, v21
	v_add_f16_e32 v19, v19, v21
	v_fma_f16 v20, v20, -0.5, v49
	v_sub_f16_e32 v21, v39, v31
	;; [unrolled: 7-line block ×3, first 2 shown]
	v_fma_f16 v31, v23, s5, v22
	v_fma_f16 v22, v23, s4, v22
	ds_write_b16 v4, v5
	ds_write_b16 v4, v13 offset:90
	ds_write_b16 v4, v10 offset:180
	ds_write_b16 v11, v12
	ds_write_b16 v11, v28 offset:90
	ds_write_b16 v11, v18 offset:180
	;; [unrolled: 3-line block ×4, first 2 shown]
	v_add_u32_e32 v4, 0xffffff79, v0
	v_cndmask_b32_e64 v4, v4, v0, s[0:1]
	v_lshlrev_b32_e32 v4, 1, v4
	v_mov_b32_e32 v5, 0
	v_lshlrev_b64 v[10:11], 2, v[4:5]
	v_mov_b32_e32 v33, s9
	v_add_co_u32_e64 v10, s[0:1], s8, v10
	v_addc_co_u32_e64 v11, s[0:1], v33, v11, s[0:1]
	s_movk_i32 s0, 0x795d
	v_mul_u32_u24_sdwa v12, v15, s0 dst_sel:DWORD dst_unused:UNUSED_PAD src0_sel:WORD_0 src1_sel:DWORD
	s_waitcnt lgkmcnt(0)
	s_barrier
	global_load_dwordx2 v[10:11], v[10:11], off offset:520
	v_lshrrev_b32_e32 v24, 22, v12
	v_mul_lo_u16_e32 v12, 0x87, v24
	v_sub_u16_e32 v25, v15, v12
	v_lshlrev_b32_e32 v12, 3, v25
	v_mul_u32_u24_sdwa v18, v16, s0 dst_sel:DWORD dst_unused:UNUSED_PAD src0_sel:WORD_0 src1_sel:DWORD
	global_load_dwordx2 v[12:13], v12, s[8:9] offset:520
	v_lshrrev_b32_e32 v28, 22, v18
	v_mul_lo_u16_e32 v18, 0x87, v28
	v_sub_u16_e32 v29, v16, v18
	v_lshlrev_b32_e32 v18, 3, v29
	global_load_dwordx2 v[18:19], v18, s[8:9] offset:520
	v_mul_u32_u24_sdwa v20, v17, s0 dst_sel:DWORD dst_unused:UNUSED_PAD src0_sel:WORD_0 src1_sel:DWORD
	v_lshrrev_b32_e32 v31, 22, v20
	v_mul_lo_u16_e32 v20, 0x87, v31
	v_sub_u16_e32 v32, v17, v20
	v_lshlrev_b32_e32 v20, 3, v32
	global_load_dwordx2 v[20:21], v20, s[8:9] offset:520
	v_mul_u32_u24_sdwa v22, v14, s0 dst_sel:DWORD dst_unused:UNUSED_PAD src0_sel:WORD_0 src1_sel:DWORD
	v_lshrrev_b32_e32 v39, 22, v22
	v_mul_lo_u16_e32 v22, 0x87, v39
	v_sub_u16_e32 v40, v14, v22
	v_lshlrev_b32_e32 v22, 3, v40
	global_load_dwordx2 v[22:23], v22, s[8:9] offset:520
	ds_read_u16 v41, v1 offset:2430
	ds_read_u16 v42, v1 offset:2916
	;; [unrolled: 1-line block ×3, first 2 shown]
	ds_read_u16 v45, v1
	ds_read_u16 v48, v1 offset:486
	ds_read_u16 v49, v1 offset:972
	;; [unrolled: 1-line block ×4, first 2 shown]
	s_movk_i32 s0, 0x86
	v_cmp_lt_u32_e64 s[0:1], s0, v0
	s_waitcnt vmcnt(4) lgkmcnt(7)
	v_mul_f16_sdwa v52, v41, v10 dst_sel:DWORD dst_unused:UNUSED_PAD src0_sel:DWORD src1_sel:WORD_1
	v_fma_f16 v52, v35, v10, -v52
	v_mul_f16_sdwa v35, v35, v10 dst_sel:DWORD dst_unused:UNUSED_PAD src0_sel:DWORD src1_sel:WORD_1
	v_fma_f16 v10, v41, v10, v35
	ds_read_u16 v35, v1 offset:3888
	ds_read_u16 v41, v1 offset:4860
	;; [unrolled: 1-line block ×7, first 2 shown]
	s_waitcnt lgkmcnt(5)
	v_mul_f16_sdwa v58, v41, v11 dst_sel:DWORD dst_unused:UNUSED_PAD src0_sel:DWORD src1_sel:WORD_1
	v_fma_f16 v58, v46, v11, -v58
	v_mul_f16_sdwa v46, v46, v11 dst_sel:DWORD dst_unused:UNUSED_PAD src0_sel:DWORD src1_sel:WORD_1
	v_fma_f16 v11, v41, v11, v46
	s_waitcnt vmcnt(3)
	v_mul_f16_sdwa v41, v42, v12 dst_sel:DWORD dst_unused:UNUSED_PAD src0_sel:DWORD src1_sel:WORD_1
	v_fma_f16 v41, v26, v12, -v41
	v_mul_f16_sdwa v26, v26, v12 dst_sel:DWORD dst_unused:UNUSED_PAD src0_sel:DWORD src1_sel:WORD_1
	v_fma_f16 v12, v42, v12, v26
	s_waitcnt lgkmcnt(4)
	v_mul_f16_sdwa v26, v53, v13 dst_sel:DWORD dst_unused:UNUSED_PAD src0_sel:DWORD src1_sel:WORD_1
	v_fma_f16 v42, v36, v13, -v26
	v_mul_f16_sdwa v26, v36, v13 dst_sel:DWORD dst_unused:UNUSED_PAD src0_sel:DWORD src1_sel:WORD_1
	v_fma_f16 v13, v53, v13, v26
	s_waitcnt vmcnt(2)
	v_mul_f16_sdwa v26, v44, v18 dst_sel:DWORD dst_unused:UNUSED_PAD src0_sel:DWORD src1_sel:WORD_1
	v_fma_f16 v36, v27, v18, -v26
	v_mul_f16_sdwa v26, v27, v18 dst_sel:DWORD dst_unused:UNUSED_PAD src0_sel:DWORD src1_sel:WORD_1
	v_fma_f16 v44, v44, v18, v26
	;; [unrolled: 10-line block ×3, first 2 shown]
	s_waitcnt lgkmcnt(2)
	v_mul_f16_sdwa v18, v55, v21 dst_sel:DWORD dst_unused:UNUSED_PAD src0_sel:DWORD src1_sel:WORD_1
	v_fma_f16 v35, v38, v21, -v18
	v_mul_f16_sdwa v18, v38, v21 dst_sel:DWORD dst_unused:UNUSED_PAD src0_sel:DWORD src1_sel:WORD_1
	v_fma_f16 v38, v55, v21, v18
	s_waitcnt vmcnt(0) lgkmcnt(0)
	v_mul_f16_sdwa v18, v57, v22 dst_sel:DWORD dst_unused:UNUSED_PAD src0_sel:DWORD src1_sel:WORD_1
	v_fma_f16 v54, v47, v22, -v18
	v_mul_f16_sdwa v18, v47, v22 dst_sel:DWORD dst_unused:UNUSED_PAD src0_sel:DWORD src1_sel:WORD_1
	v_fma_f16 v47, v57, v22, v18
	v_mul_f16_sdwa v18, v56, v23 dst_sel:DWORD dst_unused:UNUSED_PAD src0_sel:DWORD src1_sel:WORD_1
	v_fma_f16 v55, v43, v23, -v18
	v_mul_f16_sdwa v18, v43, v23 dst_sel:DWORD dst_unused:UNUSED_PAD src0_sel:DWORD src1_sel:WORD_1
	v_fma_f16 v43, v56, v23, v18
	v_add_f16_e32 v18, v52, v58
	v_fma_f16 v18, v18, -0.5, v30
	v_sub_f16_e32 v19, v10, v11
	v_fma_f16 v20, v19, s4, v18
	v_fma_f16 v18, v19, s5, v18
	v_add_f16_e32 v19, v45, v10
	v_add_f16_e32 v10, v10, v11
	;; [unrolled: 1-line block ×3, first 2 shown]
	v_fma_f16 v10, v10, -0.5, v45
	v_sub_f16_e32 v19, v52, v58
	v_fma_f16 v45, v19, s5, v10
	v_fma_f16 v10, v19, s4, v10
	v_add_f16_e32 v19, v41, v42
	v_fma_f16 v19, v19, -0.5, v9
	v_sub_f16_e32 v21, v12, v13
	v_fma_f16 v22, v21, s4, v19
	v_fma_f16 v19, v21, s5, v19
	v_add_f16_e32 v21, v36, v46
	;; [unrolled: 5-line block ×3, first 2 shown]
	v_fma_f16 v23, v23, -0.5, v7
	v_sub_f16_e32 v27, v34, v38
	v_add_f16_e32 v11, v30, v52
	v_fma_f16 v30, v27, s4, v23
	v_fma_f16 v23, v27, s5, v23
	v_add_f16_e32 v27, v54, v55
	v_fma_f16 v27, v27, -0.5, v6
	v_sub_f16_e32 v52, v47, v43
	v_fma_f16 v57, v52, s4, v27
	v_fma_f16 v27, v52, s5, v27
	v_mov_b32_e32 v52, 0x32a
	v_cndmask_b32_e64 v52, 0, v52, s[0:1]
	v_add_f16_e32 v11, v11, v58
	v_add3_u32 v4, 0, v52, v4
	s_barrier
	ds_write_b16 v4, v11
	ds_write_b16 v4, v20 offset:270
	ds_write_b16 v4, v18 offset:540
	v_lshlrev_b32_e32 v11, 1, v25
	v_mul_u32_u24_e32 v18, 0x32a, v24
	v_add_f16_e32 v9, v9, v41
	v_add3_u32 v11, 0, v18, v11
	v_add_f16_e32 v9, v9, v42
	ds_write_b16 v11, v9
	ds_write_b16 v11, v22 offset:270
	ds_write_b16 v11, v19 offset:540
	v_lshlrev_b32_e32 v9, 1, v29
	v_mul_u32_u24_e32 v18, 0x32a, v28
	v_add_f16_e32 v8, v8, v36
	v_add3_u32 v9, 0, v18, v9
	v_add_f16_e32 v8, v8, v46
	;; [unrolled: 8-line block ×4, first 2 shown]
	ds_write_b16 v7, v6
	ds_write_b16 v7, v57 offset:270
	ds_write_b16 v7, v27 offset:540
	v_add_f16_e32 v6, v12, v13
	s_waitcnt lgkmcnt(0)
	s_barrier
	ds_read_u16 v28, v1 offset:2916
	ds_read_u16 v25, v1 offset:3402
	ds_read_u16 v22, v1
	ds_read_u16 v21, v1 offset:486
	ds_read_u16 v20, v1 offset:972
	;; [unrolled: 1-line block ×12, first 2 shown]
	s_waitcnt lgkmcnt(0)
	s_barrier
	ds_write_b16 v4, v56
	ds_write_b16 v4, v45 offset:270
	ds_write_b16 v4, v10 offset:540
	v_add_f16_e32 v4, v48, v12
	v_fma_f16 v6, v6, -0.5, v48
	v_sub_f16_e32 v10, v41, v42
	v_add_f16_e32 v4, v4, v13
	v_fma_f16 v12, v10, s5, v6
	v_fma_f16 v6, v10, s4, v6
	ds_write_b16 v11, v4
	ds_write_b16 v11, v12 offset:270
	ds_write_b16 v11, v6 offset:540
	v_add_f16_e32 v6, v44, v37
	v_add_f16_e32 v12, v34, v38
	v_add_f16_e32 v4, v49, v44
	v_fma_f16 v6, v6, -0.5, v49
	v_sub_f16_e32 v10, v36, v46
	v_fma_f16 v12, v12, -0.5, v50
	v_sub_f16_e32 v13, v53, v35
	v_add_f16_e32 v35, v47, v43
	v_add_f16_e32 v4, v4, v37
	v_fma_f16 v11, v10, s5, v6
	v_fma_f16 v6, v10, s4, v6
	v_add_f16_e32 v10, v50, v34
	v_fma_f16 v34, v13, s5, v12
	v_fma_f16 v12, v13, s4, v12
	v_add_f16_e32 v13, v51, v47
	v_fma_f16 v35, v35, -0.5, v51
	v_sub_f16_e32 v36, v54, v55
	v_add_f16_e32 v10, v10, v38
	v_add_f16_e32 v13, v13, v43
	v_fma_f16 v37, v36, s5, v35
	v_fma_f16 v35, v36, s4, v35
	ds_write_b16 v9, v4
	ds_write_b16 v9, v11 offset:270
	ds_write_b16 v9, v6 offset:540
	ds_write_b16 v8, v10
	ds_write_b16 v8, v34 offset:270
	ds_write_b16 v8, v12 offset:540
	;; [unrolled: 3-line block ×3, first 2 shown]
	v_lshlrev_b32_e32 v4, 1, v0
	v_lshlrev_b64 v[6:7], 2, v[4:5]
	v_add_u32_e32 v8, 0xffffff5e, v0
	v_add_co_u32_e64 v6, s[0:1], s8, v6
	v_addc_co_u32_e64 v7, s[0:1], v33, v7, s[0:1]
	s_movk_i32 s0, 0xa2
	v_cmp_gt_u32_e64 s[0:1], s0, v0
	v_cndmask_b32_e64 v8, v8, v15, s[0:1]
	v_lshlrev_b32_e32 v8, 1, v8
	v_mov_b32_e32 v9, v5
	v_lshlrev_b64 v[12:13], 2, v[8:9]
	v_add_u32_e32 v34, 0xa2, v4
	v_mov_b32_e32 v35, v5
	s_waitcnt lgkmcnt(0)
	s_barrier
	global_load_dwordx2 v[10:11], v[6:7], off offset:1600
	v_add_co_u32_e64 v12, s[0:1], s8, v12
	v_lshlrev_b64 v[34:35], 2, v[34:35]
	v_addc_co_u32_e64 v13, s[0:1], v33, v13, s[0:1]
	global_load_dwordx2 v[12:13], v[12:13], off offset:1600
	v_add_co_u32_e64 v34, s[0:1], s8, v34
	v_addc_co_u32_e64 v35, s[0:1], v33, v35, s[0:1]
	s_movk_i32 s0, 0x43a3
	v_mul_u32_u24_sdwa v9, v17, s0 dst_sel:DWORD dst_unused:UNUSED_PAD src0_sel:WORD_0 src1_sel:DWORD
	global_load_dwordx2 v[33:34], v[34:35], off offset:1600
	v_sub_u16_sdwa v35, v17, v9 dst_sel:DWORD dst_unused:UNUSED_PAD src0_sel:DWORD src1_sel:WORD_1
	v_lshrrev_b16_e32 v35, 1, v35
	v_add_u16_sdwa v9, v35, v9 dst_sel:DWORD dst_unused:UNUSED_PAD src0_sel:DWORD src1_sel:WORD_1
	s_movk_i32 s1, 0x195
	v_mul_lo_u16_sdwa v35, v9, s1 dst_sel:DWORD dst_unused:UNUSED_PAD src0_sel:BYTE_1 src1_sel:DWORD
	v_mul_u32_u24_sdwa v37, v14, s0 dst_sel:DWORD dst_unused:UNUSED_PAD src0_sel:WORD_0 src1_sel:DWORD
	v_sub_u16_e32 v39, v17, v35
	v_sub_u16_sdwa v38, v14, v37 dst_sel:DWORD dst_unused:UNUSED_PAD src0_sel:DWORD src1_sel:WORD_1
	v_lshlrev_b32_e32 v35, 3, v39
	v_lshrrev_b16_e32 v38, 1, v38
	global_load_dwordx2 v[35:36], v35, s[8:9] offset:1600
	v_add_u16_sdwa v37, v38, v37 dst_sel:DWORD dst_unused:UNUSED_PAD src0_sel:DWORD src1_sel:WORD_1
	v_mul_lo_u16_sdwa v37, v37, s1 dst_sel:DWORD dst_unused:UNUSED_PAD src0_sel:BYTE_1 src1_sel:DWORD
	v_sub_u16_e32 v40, v14, v37
	v_lshlrev_b32_e32 v37, 3, v40
	global_load_dwordx2 v[37:38], v37, s[8:9] offset:1600
	ds_read_u16 v41, v1 offset:2430
	ds_read_u16 v42, v1 offset:2916
	;; [unrolled: 1-line block ×3, first 2 shown]
	ds_read_u16 v44, v1
	ds_read_u16 v45, v1 offset:486
	ds_read_u16 v46, v1 offset:972
	;; [unrolled: 1-line block ×4, first 2 shown]
	s_movk_i32 s0, 0xa1
	v_cmp_lt_u32_e64 s[0:1], s0, v0
	v_add_u32_e32 v4, 0, v4
	v_lshl_add_u32 v40, v40, 1, 0
	s_waitcnt vmcnt(4) lgkmcnt(7)
	v_mul_f16_sdwa v49, v41, v10 dst_sel:DWORD dst_unused:UNUSED_PAD src0_sel:DWORD src1_sel:WORD_1
	v_fma_f16 v49, v32, v10, -v49
	v_mul_f16_sdwa v32, v32, v10 dst_sel:DWORD dst_unused:UNUSED_PAD src0_sel:DWORD src1_sel:WORD_1
	v_fma_f16 v10, v41, v10, v32
	ds_read_u16 v32, v1 offset:3888
	ds_read_u16 v41, v1 offset:4860
	;; [unrolled: 1-line block ×7, first 2 shown]
	s_waitcnt lgkmcnt(5)
	v_mul_f16_sdwa v55, v41, v11 dst_sel:DWORD dst_unused:UNUSED_PAD src0_sel:DWORD src1_sel:WORD_1
	v_fma_f16 v55, v31, v11, -v55
	v_mul_f16_sdwa v31, v31, v11 dst_sel:DWORD dst_unused:UNUSED_PAD src0_sel:DWORD src1_sel:WORD_1
	v_fma_f16 v11, v41, v11, v31
	s_waitcnt vmcnt(3)
	v_mul_f16_sdwa v31, v42, v12 dst_sel:DWORD dst_unused:UNUSED_PAD src0_sel:DWORD src1_sel:WORD_1
	v_fma_f16 v31, v28, v12, -v31
	v_mul_f16_sdwa v28, v28, v12 dst_sel:DWORD dst_unused:UNUSED_PAD src0_sel:DWORD src1_sel:WORD_1
	v_fma_f16 v12, v42, v12, v28
	s_waitcnt lgkmcnt(4)
	v_mul_f16_sdwa v28, v50, v13 dst_sel:DWORD dst_unused:UNUSED_PAD src0_sel:DWORD src1_sel:WORD_1
	v_fma_f16 v28, v30, v13, -v28
	v_mul_f16_sdwa v30, v30, v13 dst_sel:DWORD dst_unused:UNUSED_PAD src0_sel:DWORD src1_sel:WORD_1
	v_fma_f16 v13, v50, v13, v30
	s_waitcnt vmcnt(2)
	v_mul_f16_sdwa v30, v43, v33 dst_sel:DWORD dst_unused:UNUSED_PAD src0_sel:DWORD src1_sel:WORD_1
	v_fma_f16 v30, v25, v33, -v30
	v_mul_f16_sdwa v25, v25, v33 dst_sel:DWORD dst_unused:UNUSED_PAD src0_sel:DWORD src1_sel:WORD_1
	v_fma_f16 v33, v43, v33, v25
	;; [unrolled: 10-line block ×3, first 2 shown]
	s_waitcnt lgkmcnt(2)
	v_mul_f16_sdwa v24, v52, v36 dst_sel:DWORD dst_unused:UNUSED_PAD src0_sel:DWORD src1_sel:WORD_1
	v_fma_f16 v35, v26, v36, -v24
	v_mul_f16_sdwa v24, v26, v36 dst_sel:DWORD dst_unused:UNUSED_PAD src0_sel:DWORD src1_sel:WORD_1
	v_fma_f16 v36, v52, v36, v24
	s_waitcnt vmcnt(0) lgkmcnt(0)
	v_mul_f16_sdwa v24, v54, v37 dst_sel:DWORD dst_unused:UNUSED_PAD src0_sel:DWORD src1_sel:WORD_1
	v_fma_f16 v42, v27, v37, -v24
	v_mul_f16_sdwa v24, v27, v37 dst_sel:DWORD dst_unused:UNUSED_PAD src0_sel:DWORD src1_sel:WORD_1
	v_fma_f16 v27, v54, v37, v24
	v_mul_f16_sdwa v24, v53, v38 dst_sel:DWORD dst_unused:UNUSED_PAD src0_sel:DWORD src1_sel:WORD_1
	v_fma_f16 v37, v23, v38, -v24
	v_mul_f16_sdwa v23, v23, v38 dst_sel:DWORD dst_unused:UNUSED_PAD src0_sel:DWORD src1_sel:WORD_1
	v_fma_f16 v38, v53, v38, v23
	v_mov_b32_e32 v23, 0x97e
	v_cndmask_b32_e64 v23, 0, v23, s[0:1]
	v_add3_u32 v43, 0, v23, v8
	v_add_f16_e32 v8, v49, v55
	v_fma_f16 v8, v8, -0.5, v22
	v_sub_f16_e32 v23, v10, v11
	v_fma_f16 v24, v23, s4, v8
	v_fma_f16 v8, v23, s5, v8
	v_add_f16_e32 v23, v44, v10
	v_add_f16_e32 v10, v10, v11
	;; [unrolled: 1-line block ×3, first 2 shown]
	v_fma_f16 v10, v10, -0.5, v44
	v_add_f16_e32 v11, v22, v49
	v_sub_f16_e32 v22, v49, v55
	v_fma_f16 v44, v22, s5, v10
	v_fma_f16 v49, v22, s4, v10
	v_add_f16_e32 v10, v31, v28
	v_fma_f16 v10, v10, -0.5, v21
	v_sub_f16_e32 v22, v12, v13
	v_fma_f16 v23, v22, s4, v10
	v_fma_f16 v10, v22, s5, v10
	v_add_f16_e32 v22, v45, v12
	v_add_f16_e32 v12, v12, v13
	v_add_f16_e32 v11, v11, v55
	v_add_f16_e32 v51, v22, v13
	v_fma_f16 v12, v12, -0.5, v45
	v_add_f16_e32 v13, v21, v31
	v_sub_f16_e32 v21, v31, v28
	v_add_f16_e32 v13, v13, v28
	v_fma_f16 v28, v21, s5, v12
	v_fma_f16 v31, v21, s4, v12
	v_add_f16_e32 v12, v30, v41
	s_barrier
	ds_write_b16 v1, v11
	ds_write_b16 v1, v24 offset:810
	ds_write_b16 v1, v8 offset:1620
	ds_write_b16 v43, v13
	ds_write_b16 v43, v23 offset:810
	ds_write_b16 v43, v10 offset:1620
	v_add_f16_e32 v8, v20, v30
	v_fma_f16 v12, v12, -0.5, v20
	v_sub_f16_e32 v21, v33, v29
	v_add_f16_e32 v8, v8, v41
	s_movk_i32 s0, 0x97e
	v_fma_f16 v22, v21, s4, v12
	v_fma_f16 v12, v21, s5, v12
	v_add_f16_e32 v21, v34, v35
	ds_write_b16 v4, v8 offset:2592
	ds_write_b16 v4, v22 offset:3402
	;; [unrolled: 1-line block ×3, first 2 shown]
	v_lshlrev_b32_e32 v8, 1, v39
	v_mul_u32_u24_sdwa v9, v9, s0 dst_sel:DWORD dst_unused:UNUSED_PAD src0_sel:BYTE_1 src1_sel:DWORD
	v_fma_f16 v21, v21, -0.5, v19
	v_sub_f16_e32 v25, v32, v36
	v_add3_u32 v39, 0, v9, v8
	v_add_f16_e32 v8, v19, v34
	v_fma_f16 v26, v25, s4, v21
	v_fma_f16 v21, v25, s5, v21
	v_add_f16_e32 v25, v42, v37
	v_add_f16_e32 v8, v8, v35
	v_fma_f16 v25, v25, -0.5, v18
	v_sub_f16_e32 v45, v27, v38
	ds_write_b16 v39, v8
	ds_write_b16 v39, v26 offset:810
	ds_write_b16 v39, v21 offset:1620
	v_add_f16_e32 v8, v18, v42
	v_fma_f16 v52, v45, s4, v25
	v_fma_f16 v25, v45, s5, v25
	v_add_f16_e32 v8, v8, v37
	ds_write_b16 v40, v8 offset:4860
	ds_write_b16 v40, v52 offset:5670
	;; [unrolled: 1-line block ×3, first 2 shown]
	s_waitcnt lgkmcnt(0)
	s_barrier
	ds_read_u16 v12, v1 offset:2916
	ds_read_u16 v19, v1 offset:3402
	ds_read_u16 v8, v1
	ds_read_u16 v10, v1 offset:486
	ds_read_u16 v13, v1 offset:972
	;; [unrolled: 1-line block ×12, first 2 shown]
	s_waitcnt lgkmcnt(0)
	s_barrier
	ds_write_b16 v1, v50
	ds_write_b16 v1, v44 offset:810
	ds_write_b16 v1, v49 offset:1620
	ds_write_b16 v43, v51
	ds_write_b16 v43, v28 offset:810
	ds_write_b16 v43, v31 offset:1620
	v_add_f16_e32 v28, v46, v33
	v_add_f16_e32 v28, v28, v29
	;; [unrolled: 1-line block ×3, first 2 shown]
	v_fma_f16 v29, v29, -0.5, v46
	v_sub_f16_e32 v30, v30, v41
	v_fma_f16 v31, v30, s5, v29
	v_fma_f16 v29, v30, s4, v29
	v_add_f16_e32 v30, v47, v32
	v_add_f16_e32 v32, v32, v36
	v_fma_f16 v32, v32, -0.5, v47
	v_sub_f16_e32 v33, v34, v35
	v_fma_f16 v34, v33, s5, v32
	v_fma_f16 v32, v33, s4, v32
	v_add_f16_e32 v33, v48, v27
	v_add_f16_e32 v27, v27, v38
	v_fma_f16 v27, v27, -0.5, v48
	v_sub_f16_e32 v35, v42, v37
	v_add_f16_e32 v30, v30, v36
	v_add_f16_e32 v33, v33, v38
	v_fma_f16 v36, v35, s5, v27
	v_fma_f16 v27, v35, s4, v27
	ds_write_b16 v4, v28 offset:2592
	ds_write_b16 v4, v31 offset:3402
	;; [unrolled: 1-line block ×3, first 2 shown]
	ds_write_b16 v39, v30
	ds_write_b16 v39, v34 offset:810
	ds_write_b16 v39, v32 offset:1620
	;; [unrolled: 1-line block ×5, first 2 shown]
	s_waitcnt lgkmcnt(0)
	s_barrier
	s_and_saveexec_b64 s[0:1], vcc
	s_cbranch_execz .LBB0_13
; %bb.12:
	v_lshlrev_b32_e32 v4, 1, v14
	v_lshlrev_b64 v[27:28], 2, v[4:5]
	v_mov_b32_e32 v33, s9
	v_add_co_u32_e32 v4, vcc, s8, v27
	v_addc_co_u32_e32 v28, vcc, v33, v28, vcc
	v_add_co_u32_e32 v27, vcc, 0x1000, v4
	v_addc_co_u32_e32 v28, vcc, 0, v28, vcc
	v_lshlrev_b32_e32 v4, 1, v17
	global_load_dwordx2 v[27:28], v[27:28], off offset:744
	v_lshlrev_b64 v[29:30], 2, v[4:5]
	s_movk_i32 s0, 0x1000
	v_add_co_u32_e32 v4, vcc, s8, v29
	v_addc_co_u32_e32 v17, vcc, v33, v30, vcc
	v_add_co_u32_e32 v29, vcc, s0, v4
	v_addc_co_u32_e32 v30, vcc, 0, v17, vcc
	global_load_dwordx2 v[29:30], v[29:30], off offset:744
	v_lshlrev_b32_e32 v4, 1, v16
	v_lshlrev_b64 v[16:17], 2, v[4:5]
	s_mov_b32 s1, 0x1af83441
	v_add_co_u32_e32 v4, vcc, s8, v16
	v_addc_co_u32_e32 v17, vcc, v33, v17, vcc
	v_add_co_u32_e32 v16, vcc, s0, v4
	v_addc_co_u32_e32 v17, vcc, 0, v17, vcc
	v_lshlrev_b32_e32 v4, 1, v15
	global_load_dwordx2 v[16:17], v[16:17], off offset:744
	v_lshlrev_b64 v[31:32], 2, v[4:5]
	ds_read_u16 v34, v1 offset:6804
	ds_read_u16 v35, v1 offset:6318
	;; [unrolled: 1-line block ×10, first 2 shown]
	v_add_co_u32_e32 v4, vcc, s8, v31
	v_addc_co_u32_e32 v15, vcc, v33, v32, vcc
	v_add_co_u32_e32 v31, vcc, s0, v4
	v_addc_co_u32_e32 v32, vcc, 0, v15, vcc
	global_load_dwordx2 v[31:32], v[31:32], off offset:744
	v_add_co_u32_e32 v6, vcc, s0, v6
	v_addc_co_u32_e32 v7, vcc, 0, v7, vcc
	global_load_dwordx2 v[6:7], v[6:7], off offset:744
	v_add_co_u32_e32 v2, vcc, s2, v2
	s_waitcnt vmcnt(4)
	v_lshrrev_b32_e32 v15, 16, v28
	s_waitcnt lgkmcnt(9)
	v_mul_f16_e32 v44, v28, v34
	v_mul_f16_e32 v34, v15, v34
	v_fma_f16 v15, v25, v15, v44
	ds_read_u16 v44, v1 offset:1944
	v_lshrrev_b32_e32 v4, 16, v27
	s_waitcnt lgkmcnt(5)
	v_mul_f16_e32 v33, v27, v39
	v_mul_f16_e32 v39, v4, v39
	v_fma_f16 v4, v26, v4, v33
	v_fma_f16 v26, v26, v27, -v39
	v_fma_f16 v25, v25, v28, -v34
	ds_read_u16 v28, v1 offset:1458
	s_waitcnt vmcnt(3)
	v_lshrrev_b32_e32 v45, 16, v29
	s_waitcnt lgkmcnt(1)
	v_add_f16_e32 v34, v4, v44
	v_mul_f16_e32 v33, v45, v40
	v_add_f16_e32 v27, v4, v15
	v_sub_f16_e32 v4, v4, v15
	v_add_f16_e32 v15, v15, v34
	v_add_f16_e32 v34, v26, v25
	v_lshrrev_b32_e32 v46, 16, v30
	v_fma_f16 v33, v22, v29, -v33
	v_sub_f16_e32 v39, v26, v25
	v_add_f16_e32 v26, v24, v26
	v_fma_f16 v24, v34, -0.5, v24
	v_mul_f16_e32 v29, v29, v40
	v_add_f16_e32 v25, v26, v25
	v_fma_f16 v26, v4, s5, v24
	v_fma_f16 v24, v4, s4, v24
	v_mul_f16_e32 v4, v46, v35
	v_fma_f16 v22, v22, v45, v29
	v_mul_f16_e32 v29, v30, v35
	v_fma_f16 v4, v23, v30, -v4
	ds_read_u16 v30, v1 offset:972
	v_fma_f16 v23, v23, v46, v29
	v_add_f16_e32 v29, v22, v23
	v_sub_f16_e32 v34, v33, v4
	s_waitcnt lgkmcnt(1)
	v_fma_f16 v29, v29, -0.5, v28
	v_fma_f16 v35, v34, s4, v29
	v_fma_f16 v29, v34, s5, v29
	v_add_f16_e32 v34, v33, v4
	v_fma_f16 v34, v34, -0.5, v21
	v_add_f16_e32 v21, v21, v33
	v_fma_f16 v27, v27, -0.5, v44
	v_add_f16_e32 v28, v22, v28
	v_sub_f16_e32 v22, v22, v23
	v_add_f16_e32 v4, v21, v4
	s_waitcnt vmcnt(2)
	v_lshrrev_b32_e32 v21, 16, v16
	v_lshrrev_b32_e32 v33, 16, v17
	v_fma_f16 v44, v39, s4, v27
	v_fma_f16 v27, v39, s5, v27
	v_add_f16_e32 v28, v23, v28
	v_fma_f16 v23, v22, s5, v34
	v_fma_f16 v22, v22, s4, v34
	v_mul_f16_e32 v34, v21, v41
	v_mul_f16_e32 v39, v33, v36
	v_fma_f16 v34, v19, v16, -v34
	v_fma_f16 v39, v20, v17, -v39
	v_mul_f16_e32 v16, v16, v41
	v_mul_f16_e32 v17, v17, v36
	v_fma_f16 v16, v19, v21, v16
	v_fma_f16 v17, v20, v33, v17
	ds_read_u16 v20, v1 offset:486
	v_add_f16_e32 v19, v16, v17
	v_add_f16_e32 v33, v34, v39
	s_waitcnt lgkmcnt(1)
	v_fma_f16 v19, v19, -0.5, v30
	v_add_f16_e32 v30, v16, v30
	v_fma_f16 v33, v33, -0.5, v13
	v_sub_f16_e32 v16, v16, v17
	v_add_f16_e32 v30, v17, v30
	v_fma_f16 v17, v16, s5, v33
	v_fma_f16 v16, v16, s4, v33
	s_waitcnt vmcnt(1)
	v_lshrrev_b32_e32 v33, 16, v31
	v_mul_f16_e32 v36, v33, v42
	v_sub_f16_e32 v40, v34, v39
	v_add_f16_e32 v13, v13, v34
	v_lshrrev_b32_e32 v34, 16, v32
	v_fma_f16 v36, v12, v31, -v36
	v_mul_f16_e32 v31, v31, v42
	v_add_f16_e32 v13, v13, v39
	v_mul_f16_e32 v39, v34, v37
	v_fma_f16 v12, v12, v33, v31
	v_mul_f16_e32 v31, v32, v37
	v_fma_f16 v39, v18, v32, -v39
	v_fma_f16 v18, v18, v34, v31
	v_add_f16_e32 v31, v12, v18
	v_add_f16_e32 v33, v36, v39
	s_waitcnt lgkmcnt(0)
	v_fma_f16 v31, v31, -0.5, v20
	v_add_f16_e32 v20, v12, v20
	v_fma_f16 v33, v33, -0.5, v10
	v_sub_f16_e32 v12, v12, v18
	ds_read_u16 v1, v1
	v_add_f16_e32 v20, v18, v20
	v_fma_f16 v18, v12, s5, v33
	v_fma_f16 v12, v12, s4, v33
	s_waitcnt vmcnt(0)
	v_lshrrev_b32_e32 v33, 16, v6
	v_lshrrev_b32_e32 v34, 16, v7
	v_fma_f16 v21, v40, s4, v19
	v_fma_f16 v19, v40, s5, v19
	v_sub_f16_e32 v40, v36, v39
	v_add_f16_e32 v10, v10, v36
	v_mul_f16_e32 v36, v33, v43
	v_mul_f16_e32 v37, v34, v38
	v_fma_f16 v36, v9, v6, -v36
	v_fma_f16 v37, v11, v7, -v37
	v_mul_f16_e32 v6, v6, v43
	v_mul_f16_e32 v7, v7, v38
	v_fma_f16 v6, v9, v33, v6
	v_fma_f16 v7, v11, v34, v7
	v_add_f16_e32 v9, v6, v7
	s_waitcnt lgkmcnt(0)
	v_fma_f16 v9, v9, -0.5, v1
	v_add_f16_e32 v1, v6, v1
	v_add_f16_e32 v33, v7, v1
	;; [unrolled: 1-line block ×3, first 2 shown]
	v_fma_f16 v1, v1, -0.5, v8
	v_sub_f16_e32 v6, v6, v7
	v_fma_f16 v7, v6, s5, v1
	v_fma_f16 v6, v6, s4, v1
	v_add_f16_e32 v1, v8, v36
	v_add_f16_e32 v8, v1, v37
	v_mov_b32_e32 v1, v5
	v_mov_b32_e32 v34, s3
	v_lshlrev_b64 v[0:1], 2, v[0:1]
	v_addc_co_u32_e32 v3, vcc, v34, v3, vcc
	v_add_co_u32_e32 v0, vcc, v2, v0
	v_add_f16_e32 v10, v10, v39
	v_sub_f16_e32 v39, v36, v37
	v_addc_co_u32_e32 v1, vcc, v3, v1, vcc
	v_pack_b32_f16 v2, v8, v33
	v_fma_f16 v11, v39, s4, v9
	v_fma_f16 v9, v39, s5, v9
	global_store_dword v[0:1], v2, off
	v_add_co_u32_e32 v2, vcc, s0, v0
	v_pack_b32_f16 v6, v6, v9
	v_addc_co_u32_e32 v3, vcc, 0, v1, vcc
	s_movk_i32 s0, 0x2000
	global_store_dword v[2:3], v6, off offset:764
	v_add_co_u32_e32 v6, vcc, s0, v0
	v_pack_b32_f16 v8, v7, v11
	v_addc_co_u32_e32 v7, vcc, 0, v1, vcc
	v_fma_f16 v32, v40, s4, v31
	v_fma_f16 v31, v40, s5, v31
	global_store_dword v[6:7], v8, off offset:1528
	v_pack_b32_f16 v8, v10, v20
	global_store_dword v[0:1], v8, off offset:972
	v_pack_b32_f16 v8, v12, v31
	;; [unrolled: 2-line block ×7, first 2 shown]
	v_mul_hi_u32 v6, v14, s1
	global_store_dword v[0:1], v4, off offset:2916
	v_pack_b32_f16 v4, v22, v29
	s_movk_i32 s0, 0x3000
	global_store_dword v[2:3], v4, off offset:3680
	v_add_co_u32_e32 v2, vcc, s0, v0
	v_pack_b32_f16 v4, v23, v35
	v_addc_co_u32_e32 v3, vcc, 0, v1, vcc
	global_store_dword v[2:3], v4, off offset:348
	v_lshrrev_b32_e32 v2, 7, v6
	v_mul_u32_u24_e32 v4, 0x97e, v2
	v_lshlrev_b64 v[2:3], 2, v[4:5]
	v_pack_b32_f16 v4, v24, v27
	v_add_co_u32_e32 v0, vcc, v0, v2
	v_addc_co_u32_e32 v1, vcc, v1, v3, vcc
	v_pack_b32_f16 v2, v25, v15
	global_store_dword v[0:1], v2, off offset:3888
	v_add_co_u32_e32 v2, vcc, 0x2000, v0
	v_addc_co_u32_e32 v3, vcc, 0, v1, vcc
	v_add_co_u32_e32 v0, vcc, 0x3000, v0
	global_store_dword v[2:3], v4, off offset:556
	v_pack_b32_f16 v2, v26, v44
	v_addc_co_u32_e32 v1, vcc, 0, v1, vcc
	global_store_dword v[0:1], v2, off offset:1320
.LBB0_13:
	s_endpgm
	.section	.rodata,"a",@progbits
	.p2align	6, 0x0
	.amdhsa_kernel fft_rtc_fwd_len3645_factors_5_3_3_3_3_3_3_wgs_243_tpt_243_halfLds_half_ip_CI_unitstride_sbrr_dirReg
		.amdhsa_group_segment_fixed_size 0
		.amdhsa_private_segment_fixed_size 0
		.amdhsa_kernarg_size 88
		.amdhsa_user_sgpr_count 6
		.amdhsa_user_sgpr_private_segment_buffer 1
		.amdhsa_user_sgpr_dispatch_ptr 0
		.amdhsa_user_sgpr_queue_ptr 0
		.amdhsa_user_sgpr_kernarg_segment_ptr 1
		.amdhsa_user_sgpr_dispatch_id 0
		.amdhsa_user_sgpr_flat_scratch_init 0
		.amdhsa_user_sgpr_private_segment_size 0
		.amdhsa_uses_dynamic_stack 0
		.amdhsa_system_sgpr_private_segment_wavefront_offset 0
		.amdhsa_system_sgpr_workgroup_id_x 1
		.amdhsa_system_sgpr_workgroup_id_y 0
		.amdhsa_system_sgpr_workgroup_id_z 0
		.amdhsa_system_sgpr_workgroup_info 0
		.amdhsa_system_vgpr_workitem_id 0
		.amdhsa_next_free_vgpr 60
		.amdhsa_next_free_sgpr 22
		.amdhsa_reserve_vcc 1
		.amdhsa_reserve_flat_scratch 0
		.amdhsa_float_round_mode_32 0
		.amdhsa_float_round_mode_16_64 0
		.amdhsa_float_denorm_mode_32 3
		.amdhsa_float_denorm_mode_16_64 3
		.amdhsa_dx10_clamp 1
		.amdhsa_ieee_mode 1
		.amdhsa_fp16_overflow 0
		.amdhsa_exception_fp_ieee_invalid_op 0
		.amdhsa_exception_fp_denorm_src 0
		.amdhsa_exception_fp_ieee_div_zero 0
		.amdhsa_exception_fp_ieee_overflow 0
		.amdhsa_exception_fp_ieee_underflow 0
		.amdhsa_exception_fp_ieee_inexact 0
		.amdhsa_exception_int_div_zero 0
	.end_amdhsa_kernel
	.text
.Lfunc_end0:
	.size	fft_rtc_fwd_len3645_factors_5_3_3_3_3_3_3_wgs_243_tpt_243_halfLds_half_ip_CI_unitstride_sbrr_dirReg, .Lfunc_end0-fft_rtc_fwd_len3645_factors_5_3_3_3_3_3_3_wgs_243_tpt_243_halfLds_half_ip_CI_unitstride_sbrr_dirReg
                                        ; -- End function
	.section	.AMDGPU.csdata,"",@progbits
; Kernel info:
; codeLenInByte = 12132
; NumSgprs: 26
; NumVgprs: 60
; ScratchSize: 0
; MemoryBound: 0
; FloatMode: 240
; IeeeMode: 1
; LDSByteSize: 0 bytes/workgroup (compile time only)
; SGPRBlocks: 3
; VGPRBlocks: 14
; NumSGPRsForWavesPerEU: 26
; NumVGPRsForWavesPerEU: 60
; Occupancy: 4
; WaveLimiterHint : 1
; COMPUTE_PGM_RSRC2:SCRATCH_EN: 0
; COMPUTE_PGM_RSRC2:USER_SGPR: 6
; COMPUTE_PGM_RSRC2:TRAP_HANDLER: 0
; COMPUTE_PGM_RSRC2:TGID_X_EN: 1
; COMPUTE_PGM_RSRC2:TGID_Y_EN: 0
; COMPUTE_PGM_RSRC2:TGID_Z_EN: 0
; COMPUTE_PGM_RSRC2:TIDIG_COMP_CNT: 0
	.type	__hip_cuid_7337756a963c0593,@object ; @__hip_cuid_7337756a963c0593
	.section	.bss,"aw",@nobits
	.globl	__hip_cuid_7337756a963c0593
__hip_cuid_7337756a963c0593:
	.byte	0                               ; 0x0
	.size	__hip_cuid_7337756a963c0593, 1

	.ident	"AMD clang version 19.0.0git (https://github.com/RadeonOpenCompute/llvm-project roc-6.4.0 25133 c7fe45cf4b819c5991fe208aaa96edf142730f1d)"
	.section	".note.GNU-stack","",@progbits
	.addrsig
	.addrsig_sym __hip_cuid_7337756a963c0593
	.amdgpu_metadata
---
amdhsa.kernels:
  - .args:
      - .actual_access:  read_only
        .address_space:  global
        .offset:         0
        .size:           8
        .value_kind:     global_buffer
      - .offset:         8
        .size:           8
        .value_kind:     by_value
      - .actual_access:  read_only
        .address_space:  global
        .offset:         16
        .size:           8
        .value_kind:     global_buffer
      - .actual_access:  read_only
        .address_space:  global
        .offset:         24
        .size:           8
        .value_kind:     global_buffer
      - .offset:         32
        .size:           8
        .value_kind:     by_value
      - .actual_access:  read_only
        .address_space:  global
        .offset:         40
        .size:           8
        .value_kind:     global_buffer
      - .actual_access:  read_only
        .address_space:  global
        .offset:         48
        .size:           8
        .value_kind:     global_buffer
      - .offset:         56
        .size:           4
        .value_kind:     by_value
      - .actual_access:  read_only
        .address_space:  global
        .offset:         64
        .size:           8
        .value_kind:     global_buffer
      - .actual_access:  read_only
        .address_space:  global
        .offset:         72
        .size:           8
        .value_kind:     global_buffer
      - .address_space:  global
        .offset:         80
        .size:           8
        .value_kind:     global_buffer
    .group_segment_fixed_size: 0
    .kernarg_segment_align: 8
    .kernarg_segment_size: 88
    .language:       OpenCL C
    .language_version:
      - 2
      - 0
    .max_flat_workgroup_size: 243
    .name:           fft_rtc_fwd_len3645_factors_5_3_3_3_3_3_3_wgs_243_tpt_243_halfLds_half_ip_CI_unitstride_sbrr_dirReg
    .private_segment_fixed_size: 0
    .sgpr_count:     26
    .sgpr_spill_count: 0
    .symbol:         fft_rtc_fwd_len3645_factors_5_3_3_3_3_3_3_wgs_243_tpt_243_halfLds_half_ip_CI_unitstride_sbrr_dirReg.kd
    .uniform_work_group_size: 1
    .uses_dynamic_stack: false
    .vgpr_count:     60
    .vgpr_spill_count: 0
    .wavefront_size: 64
amdhsa.target:   amdgcn-amd-amdhsa--gfx906
amdhsa.version:
  - 1
  - 2
...

	.end_amdgpu_metadata
